;; amdgpu-corpus repo=ROCm/rocFFT kind=compiled arch=gfx1201 opt=O3
	.text
	.amdgcn_target "amdgcn-amd-amdhsa--gfx1201"
	.amdhsa_code_object_version 6
	.protected	bluestein_single_fwd_len1620_dim1_half_op_CI_CI ; -- Begin function bluestein_single_fwd_len1620_dim1_half_op_CI_CI
	.globl	bluestein_single_fwd_len1620_dim1_half_op_CI_CI
	.p2align	8
	.type	bluestein_single_fwd_len1620_dim1_half_op_CI_CI,@function
bluestein_single_fwd_len1620_dim1_half_op_CI_CI: ; @bluestein_single_fwd_len1620_dim1_half_op_CI_CI
; %bb.0:
	s_load_b128 s[16:19], s[0:1], 0x28
	v_mul_u32_u24_e32 v1, 0x195, v0
	s_mov_b32 s2, exec_lo
	v_mov_b32_e32 v9, 0
	s_delay_alu instid0(VALU_DEP_2) | instskip(NEXT) | instid1(VALU_DEP_1)
	v_lshrrev_b32_e32 v1, 16, v1
	v_add_nc_u32_e32 v8, ttmp9, v1
	s_wait_kmcnt 0x0
	s_delay_alu instid0(VALU_DEP_1)
	v_cmpx_gt_u64_e64 s[16:17], v[8:9]
	s_cbranch_execz .LBB0_34
; %bb.1:
	s_clause 0x1
	s_load_b128 s[4:7], s[0:1], 0x18
	s_load_b128 s[8:11], s[0:1], 0x0
	v_mul_lo_u16 v1, 0xa2, v1
	s_delay_alu instid0(VALU_DEP_1) | instskip(NEXT) | instid1(VALU_DEP_1)
	v_sub_nc_u16 v9, v0, v1
	v_and_b32_e32 v57, 0xffff, v9
	s_delay_alu instid0(VALU_DEP_1)
	v_lshlrev_b32_e32 v45, 2, v57
	s_wait_kmcnt 0x0
	s_load_b128 s[12:15], s[4:5], 0x0
	s_clause 0x9
	global_load_b32 v60, v45, s[8:9]
	global_load_b32 v61, v45, s[8:9] offset:648
	global_load_b32 v59, v45, s[8:9] offset:1296
	;; [unrolled: 1-line block ×9, first 2 shown]
	v_add_nc_u32_e32 v15, 0xa00, v45
	v_add_nc_u32_e32 v16, 0x1400, v45
	;; [unrolled: 1-line block ×3, first 2 shown]
	s_wait_kmcnt 0x0
	v_mad_co_u64_u32 v[0:1], null, s14, v8, 0
	v_mad_co_u64_u32 v[2:3], null, s12, v57, 0
	s_mul_u64 s[2:3], s[12:13], 0x288
	s_delay_alu instid0(VALU_DEP_1) | instskip(NEXT) | instid1(VALU_DEP_1)
	v_mad_co_u64_u32 v[4:5], null, s15, v8, v[1:2]
	v_mad_co_u64_u32 v[5:6], null, s13, v57, v[3:4]
	v_mov_b32_e32 v1, v4
	s_load_b64 s[12:13], s[0:1], 0x38
	s_delay_alu instid0(VALU_DEP_1) | instskip(NEXT) | instid1(VALU_DEP_3)
	v_lshlrev_b64_e32 v[0:1], 2, v[0:1]
	v_mov_b32_e32 v3, v5
	s_delay_alu instid0(VALU_DEP_2) | instskip(NEXT) | instid1(VALU_DEP_2)
	v_add_co_u32 v0, vcc_lo, s18, v0
	v_lshlrev_b64_e32 v[2:3], 2, v[2:3]
	s_delay_alu instid0(VALU_DEP_4) | instskip(NEXT) | instid1(VALU_DEP_2)
	v_add_co_ci_u32_e32 v1, vcc_lo, s19, v1, vcc_lo
	v_add_co_u32 v0, vcc_lo, v0, v2
	s_wait_alu 0xfffd
	s_delay_alu instid0(VALU_DEP_2) | instskip(NEXT) | instid1(VALU_DEP_2)
	v_add_co_ci_u32_e32 v1, vcc_lo, v1, v3, vcc_lo
	v_add_co_u32 v2, vcc_lo, v0, s2
	s_wait_alu 0xfffd
	s_delay_alu instid0(VALU_DEP_2)
	v_add_co_ci_u32_e32 v3, vcc_lo, s3, v1, vcc_lo
	s_clause 0x1
	global_load_b32 v4, v[0:1], off
	global_load_b32 v5, v[2:3], off
	v_add_co_u32 v0, vcc_lo, v2, s2
	s_wait_alu 0xfffd
	v_add_co_ci_u32_e32 v1, vcc_lo, s3, v3, vcc_lo
	s_delay_alu instid0(VALU_DEP_2) | instskip(SKIP_1) | instid1(VALU_DEP_2)
	v_add_co_u32 v2, vcc_lo, v0, s2
	s_wait_alu 0xfffd
	v_add_co_ci_u32_e32 v3, vcc_lo, s3, v1, vcc_lo
	s_clause 0x1
	global_load_b32 v6, v[0:1], off
	global_load_b32 v7, v[2:3], off
	v_add_co_u32 v0, vcc_lo, v2, s2
	s_wait_alu 0xfffd
	v_add_co_ci_u32_e32 v1, vcc_lo, s3, v3, vcc_lo
	s_delay_alu instid0(VALU_DEP_2) | instskip(SKIP_1) | instid1(VALU_DEP_2)
	v_add_co_u32 v2, vcc_lo, v0, s2
	s_wait_alu 0xfffd
	v_add_co_ci_u32_e32 v3, vcc_lo, s3, v1, vcc_lo
	global_load_b32 v10, v[0:1], off
	v_add_co_u32 v0, vcc_lo, v2, s2
	s_wait_alu 0xfffd
	v_add_co_ci_u32_e32 v1, vcc_lo, s3, v3, vcc_lo
	global_load_b32 v11, v[2:3], off
	;; [unrolled: 4-line block ×5, first 2 shown]
	global_load_b32 v1, v[2:3], off
	v_add_nc_u32_e32 v2, 0xe00, v45
	s_load_b128 s[4:7], s[6:7], 0x0
	v_cmp_gt_u16_e32 vcc_lo, 54, v9
	s_wait_loadcnt 0x13
	v_lshrrev_b32_e32 v64, 16, v60
	s_wait_loadcnt 0x12
	v_lshrrev_b32_e32 v63, 16, v61
	;; [unrolled: 2-line block ×11, first 2 shown]
	v_mul_f16_e32 v17, v64, v4
	s_wait_loadcnt 0x8
	v_lshrrev_b32_e32 v19, 16, v5
	v_mul_f16_e32 v20, v63, v5
	v_mul_f16_e32 v18, v64, v3
	v_fma_f16 v3, v60, v3, -v17
	s_delay_alu instid0(VALU_DEP_2)
	v_fmac_f16_e32 v18, v60, v4
	v_mul_f16_e32 v4, v63, v19
	v_fma_f16 v19, v61, v19, -v20
	s_wait_loadcnt 0x7
	v_lshrrev_b32_e32 v17, 16, v6
	v_pack_b32_f16 v3, v18, v3
	v_fmac_f16_e32 v4, v61, v5
	s_wait_loadcnt 0x6
	v_lshrrev_b32_e32 v18, 16, v7
	v_mul_f16_e32 v20, v62, v6
	v_mul_f16_e32 v5, v62, v17
	v_pack_b32_f16 v4, v4, v19
	s_delay_alu instid0(VALU_DEP_3) | instskip(NEXT) | instid1(VALU_DEP_3)
	v_fma_f16 v17, v59, v17, -v20
	v_fmac_f16_e32 v5, v59, v6
	v_mul_f16_e32 v6, v58, v18
	s_wait_loadcnt 0x5
	v_lshrrev_b32_e32 v19, 16, v10
	v_mul_f16_e32 v20, v58, v7
	v_mul_f16_e32 v21, v55, v10
	v_pack_b32_f16 v5, v5, v17
	v_fmac_f16_e32 v6, v56, v7
	v_mul_f16_e32 v7, v55, v19
	v_fma_f16 v18, v56, v18, -v20
	v_fma_f16 v17, v54, v19, -v21
	s_wait_loadcnt 0x4
	v_lshrrev_b32_e32 v19, 16, v11
	v_mul_f16_e32 v20, v53, v11
	v_fmac_f16_e32 v7, v54, v10
	s_wait_loadcnt 0x3
	v_lshrrev_b32_e32 v10, 16, v12
	v_pack_b32_f16 v6, v6, v18
	v_mul_f16_e32 v18, v53, v19
	v_fma_f16 v19, v52, v19, -v20
	v_mul_f16_e32 v20, v51, v12
	v_pack_b32_f16 v7, v7, v17
	v_mul_f16_e32 v17, v51, v10
	v_fmac_f16_e32 v18, v52, v11
	s_wait_loadcnt 0x2
	v_lshrrev_b32_e32 v11, 16, v13
	v_fma_f16 v10, v50, v10, -v20
	v_mul_f16_e32 v20, v49, v13
	v_fmac_f16_e32 v17, v50, v12
	s_wait_loadcnt 0x1
	v_lshrrev_b32_e32 v12, 16, v0
	s_wait_loadcnt 0x0
	v_lshrrev_b32_e32 v22, 16, v1
	v_mul_f16_e32 v21, v49, v11
	v_fma_f16 v11, v48, v11, -v20
	v_mul_f16_e32 v20, v47, v0
	v_mul_f16_e32 v23, v47, v12
	;; [unrolled: 1-line block ×4, first 2 shown]
	v_fmac_f16_e32 v21, v48, v13
	v_fma_f16 v12, v46, v12, -v20
	v_fmac_f16_e32 v23, v46, v0
	v_fma_f16 v0, v43, v22, -v24
	v_fmac_f16_e32 v25, v43, v1
	v_pack_b32_f16 v1, v18, v19
	v_pack_b32_f16 v10, v17, v10
	;; [unrolled: 1-line block ×5, first 2 shown]
	ds_store_2addr_b32 v45, v3, v4 offset1:162
	ds_store_2addr_b32 v14, v5, v6 offset0:68 offset1:230
	ds_store_2addr_b32 v15, v7, v1 offset0:8 offset1:170
	;; [unrolled: 1-line block ×4, first 2 shown]
	v_mul_lo_u16 v10, v9, 10
	global_wb scope:SCOPE_SE
	s_wait_dscnt 0x0
	s_wait_kmcnt 0x0
	s_barrier_signal -1
	s_barrier_wait -1
	global_inv scope:SCOPE_SE
	ds_load_2addr_b32 v[0:1], v15 offset0:8 offset1:170
	ds_load_2addr_b32 v[2:3], v2 offset0:76 offset1:238
	;; [unrolled: 1-line block ×4, first 2 shown]
	v_and_b32_e32 v12, 0xffff, v10
	ds_load_2addr_b32 v[10:11], v45 offset1:162
	v_add_nc_u32_e32 v13, 0x1000, v45
	global_wb scope:SCOPE_SE
	s_wait_dscnt 0x0
	s_barrier_signal -1
	v_lshlrev_b32_e32 v65, 2, v12
	v_add_nc_u32_e32 v12, 0x500, v45
	s_barrier_wait -1
	global_inv scope:SCOPE_SE
                                        ; kill: def $vgpr9 killed $sgpr0 killed $exec
	v_lshrrev_b32_e32 v18, 16, v0
	v_add_f16_e32 v14, v0, v2
	v_lshrrev_b32_e32 v16, 16, v4
	v_lshrrev_b32_e32 v17, 16, v6
	;; [unrolled: 1-line block ×3, first 2 shown]
	v_sub_f16_e32 v20, v6, v2
	v_sub_f16_e32 v21, v4, v0
	v_add_f16_e32 v22, v4, v6
	v_sub_f16_e32 v23, v2, v6
	v_sub_f16_e32 v24, v0, v4
	v_pk_add_f16 v25, v10, v4
	v_add_f16_e32 v28, v1, v3
	v_lshrrev_b32_e32 v29, 16, v5
	v_lshrrev_b32_e32 v30, 16, v7
	;; [unrolled: 1-line block ×4, first 2 shown]
	v_add_f16_e32 v35, v5, v7
	v_pk_add_f16 v38, v11, v5
	v_lshrrev_b32_e32 v26, 16, v10
	v_sub_f16_e32 v27, v0, v2
	v_sub_f16_e32 v33, v7, v3
	;; [unrolled: 1-line block ×5, first 2 shown]
	v_lshrrev_b32_e32 v39, 16, v11
	v_sub_f16_e32 v40, v1, v3
	v_fma_f16 v14, -0.5, v14, v10
	v_sub_f16_e32 v41, v16, v17
	v_sub_f16_e32 v42, v18, v19
	v_add_f16_e32 v20, v21, v20
	v_fma_f16 v10, -0.5, v22, v10
	v_add_f16_e32 v21, v24, v23
	v_pk_add_f16 v0, v25, v0
	v_add_f16_e32 v22, v18, v19
	v_sub_f16_e32 v23, v16, v18
	v_sub_f16_e32 v24, v17, v19
	v_add_f16_e32 v25, v16, v17
	v_sub_f16_e32 v16, v18, v16
	v_sub_f16_e32 v17, v19, v17
	v_fma_f16 v18, -0.5, v28, v11
	v_sub_f16_e32 v19, v29, v30
	v_sub_f16_e32 v28, v31, v32
	v_fma_f16 v11, -0.5, v35, v11
	v_pk_add_f16 v1, v38, v1
	v_add_f16_e32 v35, v31, v32
	v_add_f16_e32 v38, v29, v30
	v_sub_f16_e32 v5, v5, v7
	v_add_f16_e32 v33, v34, v33
	v_add_f16_e32 v34, v37, v36
	v_sub_f16_e32 v36, v29, v31
	v_sub_f16_e32 v37, v30, v32
	;; [unrolled: 1-line block ×4, first 2 shown]
	v_pk_add_f16 v0, v0, v2
	v_fma_f16 v2, -0.5, v22, v26
	v_add_f16_e32 v22, v23, v24
	v_fmac_f16_e32 v26, -0.5, v25
	v_add_f16_e32 v16, v16, v17
	v_fmamk_f16 v17, v19, 0x3b9c, v18
	v_fmamk_f16 v23, v28, 0xbb9c, v11
	v_fmac_f16_e32 v11, 0x3b9c, v28
	v_pk_add_f16 v1, v1, v3
	v_fma_f16 v24, -0.5, v35, v39
	v_fmac_f16_e32 v39, -0.5, v38
	v_sub_f16_e32 v4, v4, v6
	v_fmac_f16_e32 v18, 0xbb9c, v19
	v_add_f16_e32 v29, v29, v30
	v_fmamk_f16 v30, v27, 0x3b9c, v26
	v_fmac_f16_e32 v26, 0xbb9c, v27
	v_fmac_f16_e32 v17, 0x38b4, v28
	;; [unrolled: 1-line block ×4, first 2 shown]
	v_pk_add_f16 v1, v1, v7
	v_fmamk_f16 v7, v5, 0xbb9c, v24
	v_fmamk_f16 v19, v40, 0x3b9c, v39
	v_fmac_f16_e32 v39, 0xbb9c, v40
	v_fmac_f16_e32 v24, 0x3b9c, v5
	v_fmamk_f16 v31, v41, 0x3b9c, v14
	v_fmac_f16_e32 v14, 0xbb9c, v41
	v_add_f16_e32 v25, v36, v37
	v_pk_add_f16 v3, v0, v6
	v_fmac_f16_e32 v18, 0xb8b4, v28
	v_fmac_f16_e32 v30, 0xb8b4, v4
	;; [unrolled: 1-line block ×9, first 2 shown]
	v_fmamk_f16 v32, v42, 0xbb9c, v10
	v_fmac_f16_e32 v10, 0x3b9c, v42
	v_fmac_f16_e32 v31, 0x38b4, v42
	;; [unrolled: 1-line block ×3, first 2 shown]
	v_fmamk_f16 v6, v4, 0xbb9c, v2
	v_fmac_f16_e32 v18, 0x34f2, v33
	v_fmac_f16_e32 v11, 0x34f2, v34
	v_pk_add_f16 v0, v3, v1
	v_pk_add_f16 v3, v3, v1 neg_lo:[0,1] neg_hi:[0,1]
	v_fmac_f16_e32 v30, 0x34f2, v16
	v_fmac_f16_e32 v26, 0x34f2, v16
	;; [unrolled: 1-line block ×5, first 2 shown]
	v_mul_f16_e32 v1, 0x3a79, v17
	v_mul_f16_e32 v16, 0xb8b4, v17
	v_fmac_f16_e32 v2, 0x3b9c, v4
	v_fmac_f16_e32 v24, 0x34f2, v25
	v_mul_f16_e32 v17, 0xbb9c, v23
	v_fmac_f16_e32 v32, 0x38b4, v41
	v_fmac_f16_e32 v10, 0xb8b4, v41
	v_fmac_f16_e32 v31, 0x34f2, v20
	v_fmac_f16_e32 v14, 0x34f2, v20
	v_fmac_f16_e32 v6, 0xb8b4, v27
	v_mul_f16_e32 v4, 0x34f2, v11
	v_mul_f16_e32 v5, 0x3a79, v18
	v_fmac_f16_e32 v1, 0x38b4, v7
	v_mul_f16_e32 v20, 0x3b9c, v19
	v_fmac_f16_e32 v16, 0x3a79, v7
	;; [unrolled: 2-line block ×3, first 2 shown]
	v_fmac_f16_e32 v17, 0x34f2, v19
	v_mul_f16_e32 v19, 0x3a79, v24
	v_fmac_f16_e32 v32, 0x34f2, v21
	v_fmac_f16_e32 v10, 0x34f2, v21
	;; [unrolled: 1-line block ×3, first 2 shown]
	v_fma_f16 v4, v39, 0x3b9c, -v4
	v_fma_f16 v5, v24, 0x38b4, -v5
	v_fmac_f16_e32 v20, 0x34f2, v23
	v_fma_f16 v7, v11, 0xbb9c, -v7
	v_fmac_f16_e32 v2, 0x34f2, v22
	v_fma_f16 v11, v18, 0xb8b4, -v19
	v_add_f16_e32 v21, v31, v1
	v_add_f16_e32 v22, v10, v4
	;; [unrolled: 1-line block ×5, first 2 shown]
	v_sub_f16_e32 v10, v10, v4
	v_sub_f16_e32 v34, v14, v5
	;; [unrolled: 1-line block ×3, first 2 shown]
	v_add_f16_e32 v6, v32, v20
	v_add_f16_e32 v14, v26, v7
	v_sub_f16_e32 v18, v31, v1
	v_sub_f16_e32 v5, v30, v17
	v_add_f16_e32 v16, v2, v11
	v_sub_f16_e32 v17, v32, v20
	v_sub_f16_e32 v19, v26, v7
	;; [unrolled: 1-line block ×3, first 2 shown]
	v_pack_b32_f16 v1, v21, v24
	v_pack_b32_f16 v7, v22, v14
	;; [unrolled: 1-line block ×8, first 2 shown]
	ds_store_2addr_b64 v65, v[0:1], v[6:7] offset1:1
	ds_store_2addr_b64 v65, v[2:3], v[4:5] offset0:2 offset1:3
	ds_store_b64 v65, v[10:11] offset:32
	global_wb scope:SCOPE_SE
	s_wait_dscnt 0x0
	s_barrier_signal -1
	s_barrier_wait -1
	global_inv scope:SCOPE_SE
	ds_load_2addr_b32 v[2:3], v45 offset1:162
	ds_load_2addr_b32 v[0:1], v12 offset0:4 offset1:220
	ds_load_2addr_b32 v[6:7], v13 offset0:56 offset1:218
	;; [unrolled: 1-line block ×3, first 2 shown]
	ds_load_b32 v19, v45 offset:5616
                                        ; implicit-def: $vgpr20
                                        ; implicit-def: $vgpr22
                                        ; implicit-def: $vgpr21
                                        ; implicit-def: $vgpr23
	s_and_saveexec_b32 s0, vcc_lo
	s_cbranch_execz .LBB0_3
; %bb.2:
	ds_load_b32 v34, v45 offset:1944
	ds_load_b32 v20, v45 offset:4104
	;; [unrolled: 1-line block ×3, first 2 shown]
	s_wait_dscnt 0x2
	v_lshrrev_b32_e32 v35, 16, v34
	s_wait_dscnt 0x1
	v_lshrrev_b32_e32 v22, 16, v20
	;; [unrolled: 2-line block ×3, first 2 shown]
.LBB0_3:
	s_wait_alu 0xfffe
	s_or_b32 exec_lo, exec_lo, s0
	v_and_b32_e32 v9, 0xff, v57
	v_add_co_u32 v27, s0, 0xa2, v57
	s_wait_alu 0xf1ff
	v_add_co_ci_u32_e64 v28, null, 0, 0, s0
	v_add_co_u32 v25, s0, 0x144, v57
	v_mul_lo_u16 v9, 0xcd, v9
	s_wait_alu 0xf1ff
	v_add_co_ci_u32_e64 v26, null, 0, 0, s0
	v_add_co_u32 v95, s0, 0x1e6, v57
	v_and_b32_e32 v31, 0xffff, v27
	v_lshrrev_b16 v24, 11, v9
	v_and_b32_e32 v18, 0xffff, v25
	s_delay_alu instid0(VALU_DEP_4)
	v_and_b32_e32 v17, 0xffff, v95
	s_wait_dscnt 0x3
	v_lshrrev_b32_e32 v38, 16, v1
	v_mul_u32_u24_e32 v9, 0xcccd, v31
	v_mul_lo_u16 v10, v24, 10
	v_mul_u32_u24_e32 v11, 0xcccd, v18
	v_mul_u32_u24_e32 v12, 0xcccd, v17
	v_and_b32_e32 v24, 0xffff, v24
	v_lshrrev_b32_e32 v29, 19, v9
	v_sub_nc_u16 v9, v57, v10
	v_lshrrev_b32_e32 v30, 19, v11
	v_lshrrev_b32_e32 v66, 19, v12
	s_wait_dscnt 0x2
	v_lshrrev_b32_e32 v39, 16, v6
	v_mul_lo_u16 v10, v29, 10
	v_and_b32_e32 v32, 0xff, v9
	v_mul_lo_u16 v9, v30, 10
	v_mul_lo_u16 v11, v66, 10
	v_mul_u32_u24_e32 v24, 30, v24
	v_sub_nc_u16 v33, v27, v10
	v_lshlrev_b32_e32 v10, 3, v32
	v_sub_nc_u16 v36, v25, v9
	v_sub_nc_u16 v67, v95, v11
	s_wait_dscnt 0x1
	v_lshrrev_b32_e32 v41, 16, v4
	v_lshlrev_b16 v9, 1, v33
	global_load_b64 v[15:16], v10, s[10:11]
	v_lshlrev_b16 v10, 1, v36
	v_lshlrev_b16 v11, 1, v67
	v_mad_u16 v29, v29, 30, v33
	v_and_b32_e32 v9, 0xffff, v9
	v_mad_u16 v30, v30, 30, v36
	v_and_b32_e32 v10, 0xffff, v10
	v_and_b32_e32 v11, 0xffff, v11
	;; [unrolled: 1-line block ×3, first 2 shown]
	v_lshlrev_b32_e32 v9, 2, v9
	v_and_b32_e32 v30, 0xffff, v30
	v_lshlrev_b32_e32 v10, 2, v10
	v_lshlrev_b32_e32 v37, 2, v11
	s_clause 0x2
	global_load_b64 v[13:14], v9, s[10:11]
	global_load_b64 v[11:12], v10, s[10:11]
	;; [unrolled: 1-line block ×3, first 2 shown]
	v_lshrrev_b32_e32 v33, 16, v7
	v_add_lshl_u32 v70, v24, v32, 2
	v_lshlrev_b32_e32 v69, 2, v29
	v_lshlrev_b32_e32 v68, 2, v30
	v_lshrrev_b32_e32 v42, 16, v5
	s_wait_dscnt 0x0
	v_lshrrev_b32_e32 v71, 16, v19
	v_lshrrev_b32_e32 v37, 16, v2
	;; [unrolled: 1-line block ×4, first 2 shown]
	s_wait_alu 0xf1ff
	v_add_co_ci_u32_e64 v96, null, 0, 0, s0
	global_wb scope:SCOPE_SE
	s_wait_loadcnt 0x0
	s_barrier_signal -1
	s_barrier_wait -1
	global_inv scope:SCOPE_SE
	v_lshrrev_b32_e32 v81, 16, v15
	v_lshrrev_b32_e32 v80, 16, v16
	s_delay_alu instid0(VALU_DEP_2) | instskip(SKIP_1) | instid1(VALU_DEP_3)
	v_mul_f16_e32 v24, v38, v81
	v_mul_f16_e32 v29, v1, v81
	;; [unrolled: 1-line block ×4, first 2 shown]
	s_delay_alu instid0(VALU_DEP_4) | instskip(NEXT) | instid1(VALU_DEP_4)
	v_fma_f16 v1, v1, v15, -v24
	v_fmac_f16_e32 v29, v38, v15
	s_delay_alu instid0(VALU_DEP_4)
	v_fma_f16 v6, v6, v16, -v30
	v_lshrrev_b32_e32 v82, 16, v13
	v_lshrrev_b32_e32 v79, 16, v14
	;; [unrolled: 1-line block ×6, first 2 shown]
	v_fmac_f16_e32 v32, v39, v16
	v_mul_f16_e32 v24, v41, v82
	v_mul_f16_e32 v30, v4, v82
	;; [unrolled: 1-line block ×12, first 2 shown]
	v_add_f16_e32 v89, v1, v6
	v_sub_f16_e32 v90, v29, v32
	v_add_f16_e32 v91, v37, v29
	v_add_f16_e32 v29, v29, v32
	v_fma_f16 v4, v4, v13, -v24
	v_fmac_f16_e32 v30, v41, v13
	v_fma_f16 v7, v7, v14, -v38
	v_fmac_f16_e32 v39, v33, v14
	v_fma_f16 v5, v5, v11, -v72
	v_fmac_f16_e32 v73, v42, v11
	v_fma_f16 v19, v19, v12, -v74
	v_fmac_f16_e32 v83, v71, v12
	v_fma_f16 v20, v20, v9, -v84
	v_fmac_f16_e32 v85, v22, v9
	v_fma_f16 v21, v21, v10, -v86
	v_fmac_f16_e32 v87, v23, v10
	v_add_f16_e32 v88, v2, v1
	v_sub_f16_e32 v1, v1, v6
	v_fma_f16 v2, -0.5, v89, v2
	v_fmac_f16_e32 v37, -0.5, v29
	v_add_f16_e32 v22, v91, v32
	v_add_f16_e32 v29, v4, v7
	v_sub_f16_e32 v38, v30, v39
	v_add_f16_e32 v32, v40, v30
	v_add_f16_e32 v30, v30, v39
	;; [unrolled: 1-line block ×5, first 2 shown]
	v_sub_f16_e32 v84, v85, v87
	v_add_f16_e32 v86, v35, v85
	v_add_f16_e32 v85, v85, v87
	v_fmamk_f16 v23, v90, 0x3aee, v2
	v_fmamk_f16 v24, v1, 0xbaee, v37
	v_fmac_f16_e32 v37, 0x3aee, v1
	v_add_f16_e32 v1, v3, v4
	v_sub_f16_e32 v4, v4, v7
	v_add_f16_e32 v33, v0, v5
	v_sub_f16_e32 v42, v73, v83
	v_add_f16_e32 v71, v36, v73
	v_add_f16_e32 v73, v34, v20
	v_fmac_f16_e32 v3, -0.5, v29
	v_fmac_f16_e32 v40, -0.5, v30
	v_fmac_f16_e32 v2, 0xbaee, v90
	v_sub_f16_e32 v5, v5, v19
	v_fmac_f16_e32 v0, -0.5, v41
	v_fmac_f16_e32 v36, -0.5, v72
	v_add_f16_e32 v6, v88, v6
	v_sub_f16_e32 v20, v20, v21
	v_fmac_f16_e32 v34, -0.5, v74
	v_fmac_f16_e32 v35, -0.5, v85
	v_add_f16_e32 v1, v1, v7
	v_add_f16_e32 v29, v32, v39
	;; [unrolled: 1-line block ×5, first 2 shown]
	v_pack_b32_f16 v21, v23, v24
	v_fmamk_f16 v23, v38, 0x3aee, v3
	v_fmamk_f16 v24, v4, 0xbaee, v40
	v_fmac_f16_e32 v3, 0xbaee, v38
	v_fmac_f16_e32 v40, 0x3aee, v4
	v_pack_b32_f16 v2, v2, v37
	v_fmamk_f16 v4, v42, 0x3aee, v0
	v_fmamk_f16 v37, v5, 0xbaee, v36
	v_fmac_f16_e32 v0, 0xbaee, v42
	v_fmac_f16_e32 v36, 0x3aee, v5
	v_pack_b32_f16 v22, v6, v22
	v_add_f16_e32 v33, v86, v87
	v_fmamk_f16 v6, v84, 0x3aee, v34
	v_fmac_f16_e32 v34, 0xbaee, v84
	v_fmamk_f16 v7, v20, 0xbaee, v35
	v_fmac_f16_e32 v35, 0x3aee, v20
	v_pack_b32_f16 v1, v1, v29
	v_pack_b32_f16 v5, v19, v30
	;; [unrolled: 1-line block ×6, first 2 shown]
	ds_store_2addr_b32 v70, v22, v21 offset1:10
	ds_store_b32 v70, v2 offset:80
	ds_store_2addr_b32 v69, v1, v19 offset1:10
	ds_store_b32 v69, v3 offset:80
	;; [unrolled: 2-line block ×3, first 2 shown]
	s_and_saveexec_b32 s0, vcc_lo
	s_cbranch_execz .LBB0_5
; %bb.4:
	v_mad_u16 v0, v66, 30, v67
	v_perm_b32 v1, v33, v32, 0x5040100
	v_perm_b32 v2, v7, v6, 0x5040100
	;; [unrolled: 1-line block ×3, first 2 shown]
	s_delay_alu instid0(VALU_DEP_4) | instskip(NEXT) | instid1(VALU_DEP_1)
	v_and_b32_e32 v0, 0xffff, v0
	v_lshlrev_b32_e32 v0, 2, v0
	ds_store_2addr_b32 v0, v1, v2 offset1:10
	ds_store_b32 v0, v3 offset:80
.LBB0_5:
	s_wait_alu 0xfffe
	s_or_b32 exec_lo, exec_lo, s0
	v_add_nc_u32_e32 v2, 0x500, v45
	v_add_nc_u32_e32 v3, 0x1000, v45
	;; [unrolled: 1-line block ×3, first 2 shown]
	global_wb scope:SCOPE_SE
	s_wait_dscnt 0x0
	s_barrier_signal -1
	s_barrier_wait -1
	global_inv scope:SCOPE_SE
	ds_load_2addr_b32 v[0:1], v45 offset1:162
	ds_load_2addr_b32 v[29:30], v2 offset0:4 offset1:220
	ds_load_2addr_b32 v[4:5], v3 offset0:56 offset1:218
	ds_load_2addr_b32 v[2:3], v19 offset0:62 offset1:224
	ds_load_b32 v37, v45 offset:5616
	s_and_saveexec_b32 s0, vcc_lo
	s_cbranch_execz .LBB0_7
; %bb.6:
	ds_load_b32 v32, v45 offset:1944
	ds_load_b32 v6, v45 offset:4104
	;; [unrolled: 1-line block ×3, first 2 shown]
	s_wait_dscnt 0x2
	v_lshrrev_b32_e32 v33, 16, v32
	s_wait_dscnt 0x1
	v_lshrrev_b32_e32 v7, 16, v6
	;; [unrolled: 2-line block ×3, first 2 shown]
.LBB0_7:
	s_wait_alu 0xfffe
	s_or_b32 exec_lo, exec_lo, s0
	v_and_b32_e32 v19, 0xff, v57
	v_mul_u32_u24_e32 v20, 0x8889, v31
	v_mul_u32_u24_e32 v18, 0x8889, v18
	;; [unrolled: 1-line block ×3, first 2 shown]
	s_wait_dscnt 0x1
	v_lshrrev_b32_e32 v85, 16, v2
	v_mul_lo_u16 v19, 0x89, v19
	v_lshrrev_b32_e32 v36, 20, v20
	v_lshrrev_b32_e32 v40, 20, v18
	;; [unrolled: 1-line block ×4, first 2 shown]
	v_lshrrev_b16 v42, 12, v19
	v_mul_lo_u16 v17, v36, 30
	v_mul_lo_u16 v18, v40, 30
	;; [unrolled: 1-line block ×3, first 2 shown]
	v_lshrrev_b32_e32 v97, 16, v3
	v_mul_lo_u16 v20, v42, 30
	v_sub_nc_u16 v71, v27, v17
	v_sub_nc_u16 v72, v25, v18
	;; [unrolled: 1-line block ×3, first 2 shown]
	v_and_b32_e32 v42, 0xffff, v42
	v_sub_nc_u16 v17, v57, v20
	v_lshlrev_b16 v18, 3, v71
	v_lshlrev_b16 v19, 3, v72
	;; [unrolled: 1-line block ×3, first 2 shown]
	v_mad_u16 v71, 0x5a, v36, v71
	v_and_b32_e32 v74, 0xff, v17
	v_and_b32_e32 v17, 0xffff, v18
	;; [unrolled: 1-line block ×4, first 2 shown]
	v_mad_u16 v40, 0x5a, v40, v72
	v_lshlrev_b32_e32 v22, 3, v74
	v_add_co_u32 v17, s0, s10, v17
	s_wait_alu 0xf1ff
	v_add_co_ci_u32_e64 v18, null, s11, 0, s0
	v_add_co_u32 v19, s0, s10, v19
	s_wait_alu 0xf1ff
	v_add_co_ci_u32_e64 v20, null, s11, 0, s0
	v_add_co_u32 v38, s0, s10, v21
	global_load_b64 v[23:24], v22, s[10:11] offset:80
	s_wait_alu 0xf1ff
	v_add_co_ci_u32_e64 v39, null, s11, 0, s0
	s_clause 0x2
	global_load_b64 v[21:22], v[17:18], off offset:80
	global_load_b64 v[19:20], v[19:20], off offset:80
	;; [unrolled: 1-line block ×3, first 2 shown]
	v_lshrrev_b32_e32 v38, 16, v30
	v_lshrrev_b32_e32 v39, 16, v4
	v_mul_u32_u24_e32 v42, 0x5a, v42
	v_and_b32_e32 v72, 0xffff, v71
	v_and_b32_e32 v40, 0xffff, v40
	s_wait_dscnt 0x0
	v_lshrrev_b32_e32 v98, 16, v37
	v_mad_u16 v71, 0x5a, v41, v73
	v_add_lshl_u32 v74, v42, v74, 2
	v_lshlrev_b32_e32 v73, 2, v72
	v_lshlrev_b32_e32 v72, 2, v40
	v_lshrrev_b32_e32 v83, 16, v0
	v_lshrrev_b32_e32 v84, 16, v1
	;; [unrolled: 1-line block ×3, first 2 shown]
	global_wb scope:SCOPE_SE
	s_wait_loadcnt 0x0
	s_barrier_signal -1
	s_barrier_wait -1
	global_inv scope:SCOPE_SE
	v_lshrrev_b32_e32 v93, 16, v23
	v_lshrrev_b32_e32 v92, 16, v24
	;; [unrolled: 1-line block ×8, first 2 shown]
	v_mul_f16_e32 v40, v38, v93
	v_mul_f16_e32 v41, v30, v93
	;; [unrolled: 1-line block ×16, first 2 shown]
	v_fma_f16 v30, v30, v23, -v40
	v_fmac_f16_e32 v41, v38, v23
	v_fma_f16 v4, v4, v24, -v42
	v_fmac_f16_e32 v99, v39, v24
	;; [unrolled: 2-line block ×8, first 2 shown]
	v_add_f16_e32 v35, v30, v4
	v_add_f16_e32 v40, v41, v99
	;; [unrolled: 1-line block ×7, first 2 shown]
	v_sub_f16_e32 v38, v41, v99
	v_add_f16_e32 v39, v83, v41
	v_sub_f16_e32 v41, v30, v4
	v_add_f16_e32 v30, v1, v2
	;; [unrolled: 2-line block ×3, first 2 shown]
	v_add_f16_e32 v98, v29, v3
	v_sub_f16_e32 v101, v105, v107
	v_add_f16_e32 v102, v36, v105
	v_add_f16_e32 v105, v32, v6
	;; [unrolled: 1-line block ×3, first 2 shown]
	v_sub_f16_e32 v108, v109, v111
	v_add_f16_e32 v110, v33, v109
	v_add_f16_e32 v109, v109, v111
	v_fma_f16 v0, -0.5, v35, v0
	v_fmac_f16_e32 v83, -0.5, v40
	v_sub_f16_e32 v2, v2, v5
	v_fmac_f16_e32 v1, -0.5, v42
	v_fmac_f16_e32 v84, -0.5, v97
	v_sub_f16_e32 v3, v3, v37
	v_fmac_f16_e32 v29, -0.5, v100
	v_fmac_f16_e32 v36, -0.5, v104
	v_sub_f16_e32 v6, v6, v7
	v_add_f16_e32 v4, v34, v4
	v_add_f16_e32 v35, v39, v99
	;; [unrolled: 1-line block ×6, first 2 shown]
	v_fmac_f16_e32 v32, -0.5, v106
	v_fmac_f16_e32 v33, -0.5, v109
	v_fmamk_f16 v7, v38, 0x3aee, v0
	v_fmamk_f16 v97, v41, 0xbaee, v83
	v_fmac_f16_e32 v0, 0xbaee, v38
	v_fmac_f16_e32 v83, 0x3aee, v41
	v_fmamk_f16 v98, v85, 0x3aee, v1
	v_fmac_f16_e32 v1, 0xbaee, v85
	v_fmamk_f16 v85, v2, 0xbaee, v84
	v_fmac_f16_e32 v84, 0x3aee, v2
	v_add_f16_e32 v34, v102, v107
	v_fmamk_f16 v38, v101, 0x3aee, v29
	v_fmamk_f16 v41, v3, 0xbaee, v36
	v_add_f16_e32 v39, v110, v111
	v_fmac_f16_e32 v29, 0xbaee, v101
	v_fmac_f16_e32 v36, 0x3aee, v3
	v_fmamk_f16 v40, v108, 0x3aee, v32
	v_fmac_f16_e32 v32, 0xbaee, v108
	v_fmamk_f16 v42, v6, 0xbaee, v33
	v_fmac_f16_e32 v33, 0x3aee, v6
	v_pack_b32_f16 v2, v4, v35
	v_pack_b32_f16 v3, v5, v94
	;; [unrolled: 1-line block ×9, first 2 shown]
	ds_store_2addr_b32 v74, v2, v5 offset1:30
	ds_store_b32 v74, v0 offset:240
	ds_store_2addr_b32 v73, v3, v6 offset1:30
	ds_store_b32 v73, v1 offset:240
	;; [unrolled: 2-line block ×3, first 2 shown]
	s_and_saveexec_b32 s0, vcc_lo
	s_cbranch_execz .LBB0_9
; %bb.8:
	v_and_b32_e32 v0, 0xffff, v71
	v_perm_b32 v1, v39, v37, 0x5040100
	v_perm_b32 v2, v42, v40, 0x5040100
	;; [unrolled: 1-line block ×3, first 2 shown]
	s_delay_alu instid0(VALU_DEP_4)
	v_lshlrev_b32_e32 v0, 2, v0
	ds_store_2addr_b32 v0, v1, v2 offset1:30
	ds_store_b32 v0, v3 offset:240
.LBB0_9:
	s_wait_alu 0xfffe
	s_or_b32 exec_lo, exec_lo, s0
	global_wb scope:SCOPE_SE
	s_wait_dscnt 0x0
	s_barrier_signal -1
	s_barrier_wait -1
	global_inv scope:SCOPE_SE
	ds_load_b32 v35, v45
	ds_load_b32 v100, v45 offset:1080
	ds_load_b32 v99, v45 offset:2160
	;; [unrolled: 1-line block ×5, first 2 shown]
	v_cmp_gt_u16_e64 s0, 0x6c, v57
	s_delay_alu instid0(VALU_DEP_1)
	s_and_saveexec_b32 s1, s0
	s_cbranch_execz .LBB0_11
; %bb.10:
	ds_load_b32 v30, v45 offset:648
	ds_load_b32 v38, v45 offset:1728
	;; [unrolled: 1-line block ×6, first 2 shown]
	s_wait_dscnt 0x5
	v_lshrrev_b32_e32 v34, 16, v30
	s_wait_dscnt 0x4
	v_lshrrev_b32_e32 v41, 16, v38
	;; [unrolled: 2-line block ×6, first 2 shown]
.LBB0_11:
	s_wait_alu 0xfffe
	s_or_b32 exec_lo, exec_lo, s1
	v_add_nc_u32_e32 v0, 0xffffffa6, v57
	v_cmp_gt_u16_e64 s1, 0x5a, v57
	s_wait_dscnt 0x0
	v_lshrrev_b32_e32 v108, 16, v94
	v_lshrrev_b32_e32 v104, 16, v100
	;; [unrolled: 1-line block ×4, first 2 shown]
	s_wait_alu 0xf1ff
	v_cndmask_b32_e64 v101, v0, v57, s1
	v_mul_u32_u24_e32 v0, 0x2d83, v31
	s_delay_alu instid0(VALU_DEP_2) | instskip(SKIP_1) | instid1(VALU_DEP_3)
	v_mul_i32_i24_e32 v1, 20, v101
	v_mul_hi_i32_i24_e32 v2, 20, v101
	v_lshrrev_b32_e32 v102, 20, v0
	s_delay_alu instid0(VALU_DEP_3) | instskip(SKIP_1) | instid1(VALU_DEP_3)
	v_add_co_u32 v0, s1, s10, v1
	s_wait_alu 0xf1ff
	v_add_co_ci_u32_e64 v1, s1, s11, v2, s1
	s_delay_alu instid0(VALU_DEP_3) | instskip(SKIP_4) | instid1(VALU_DEP_1)
	v_mul_lo_u16 v2, 0x5a, v102
	s_clause 0x1
	global_load_b128 v[4:7], v[0:1], off offset:320
	global_load_b32 v85, v[0:1], off offset:336
	v_sub_nc_u16 v117, v27, v2
	v_mul_lo_u16 v0, v117, 20
	s_delay_alu instid0(VALU_DEP_1) | instskip(NEXT) | instid1(VALU_DEP_1)
	v_and_b32_e32 v0, 0xffff, v0
	v_add_co_u32 v83, s1, s10, v0
	s_wait_alu 0xf1ff
	v_add_co_ci_u32_e64 v84, null, s11, 0, s1
	s_clause 0x1
	global_load_b128 v[0:3], v[83:84], off offset:320
	global_load_b32 v84, v[83:84], off offset:336
	v_cmp_lt_u16_e64 s1, 0x59, v57
	global_wb scope:SCOPE_SE
	s_wait_loadcnt 0x0
	s_barrier_signal -1
	s_barrier_wait -1
	global_inv scope:SCOPE_SE
	s_wait_alu 0xf1ff
	v_cndmask_b32_e64 v31, 0, 0x21c, s1
	s_delay_alu instid0(VALU_DEP_1) | instskip(SKIP_2) | instid1(VALU_DEP_3)
	v_add_lshl_u32 v83, v101, v31, 2
	v_lshrrev_b32_e32 v101, 16, v98
	v_lshrrev_b32_e32 v31, 16, v99
	v_add_nc_u32_e32 v118, 0x200, v83
	v_add_nc_u32_e32 v119, 0x400, v83
	v_lshrrev_b32_e32 v110, 16, v4
	v_lshrrev_b32_e32 v109, 16, v5
	;; [unrolled: 1-line block ×5, first 2 shown]
	v_mul_f16_e32 v113, v100, v110
	v_mul_f16_e32 v115, v99, v109
	;; [unrolled: 1-line block ×10, first 2 shown]
	v_fmac_f16_e32 v113, v104, v4
	v_fmac_f16_e32 v115, v31, v5
	v_fma_f16 v31, v98, v6, -v116
	v_fmac_f16_e32 v120, v101, v6
	v_fma_f16 v94, v94, v85, -v123
	;; [unrolled: 2-line block ×3, first 2 shown]
	v_fma_f16 v99, v99, v5, -v114
	v_fma_f16 v97, v97, v7, -v121
	v_fmac_f16_e32 v122, v106, v7
	v_lshrrev_b32_e32 v108, 16, v0
	v_lshrrev_b32_e32 v106, 16, v1
	;; [unrolled: 1-line block ×5, first 2 shown]
	v_add_f16_e32 v125, v31, v94
	v_sub_f16_e32 v126, v120, v124
	v_add_f16_e32 v127, v113, v120
	v_add_f16_e32 v120, v120, v124
	;; [unrolled: 1-line block ×4, first 2 shown]
	v_sub_f16_e32 v116, v115, v122
	v_add_f16_e32 v121, v111, v115
	v_add_f16_e32 v115, v115, v122
	;; [unrolled: 1-line block ×3, first 2 shown]
	v_sub_f16_e32 v31, v31, v94
	v_mul_f16_e64 v128, v41, v108
	v_mul_f16_e64 v130, v36, v106
	;; [unrolled: 1-line block ×8, first 2 shown]
	v_fmac_f16_e32 v100, -0.5, v125
	v_fmac_f16_e32 v113, -0.5, v120
	v_sub_f16_e32 v99, v99, v97
	v_mul_f16_e64 v129, v38, v108
	v_mul_f16_e64 v135, v40, v101
	v_add_f16_e32 v97, v112, v97
	v_fmac_f16_e32 v35, -0.5, v114
	v_add_f16_e32 v112, v121, v122
	v_fmac_f16_e32 v111, -0.5, v115
	v_add_f16_e32 v94, v123, v94
	v_add_f16_e32 v114, v127, v124
	v_fma_f16 v120, v38, v0, -v128
	v_fma_f16 v29, v29, v1, -v130
	v_fmac_f16_e64 v131, v36, v1
	v_fma_f16 v36, v37, v2, -v132
	v_fmac_f16_e64 v133, v39, v2
	v_fma_f16 v37, v40, v3, -v134
	v_fma_f16 v38, v32, v84, -v136
	v_fmac_f16_e64 v137, v33, v84
	v_fmamk_f16 v32, v126, 0x3aee, v100
	v_fmac_f16_e32 v100, 0xbaee, v126
	v_fmamk_f16 v33, v31, 0xbaee, v113
	v_fmac_f16_e32 v113, 0x3aee, v31
	v_fmac_f16_e64 v129, v41, v0
	v_fmac_f16_e64 v135, v42, v3
	v_fmamk_f16 v39, v116, 0x3aee, v35
	v_fmac_f16_e32 v35, 0xbaee, v116
	v_fmamk_f16 v40, v99, 0xbaee, v111
	v_fmac_f16_e32 v111, 0x3aee, v99
	v_add_f16_e32 v31, v97, v94
	v_add_f16_e32 v41, v112, v114
	v_sub_f16_e32 v42, v97, v94
	v_sub_f16_e32 v94, v112, v114
	v_mul_f16_e32 v99, -0.5, v100
	v_mul_f16_e32 v114, -0.5, v113
	v_add_f16_e32 v116, v29, v37
	v_add_f16_e32 v126, v36, v38
	v_add_f16_e64 v130, v133, v137
	v_mul_f16_e32 v97, 0x3aee, v33
	v_mul_f16_e32 v112, 0xbaee, v32
	v_add_f16_e32 v115, v30, v29
	v_sub_f16_e64 v121, v131, v135
	v_add_f16_e64 v122, v34, v131
	v_add_f16_e64 v123, v131, v135
	v_add_f16_e32 v125, v120, v36
	v_sub_f16_e64 v127, v133, v137
	v_add_f16_e64 v128, v129, v133
	v_sub_f16_e64 v131, v36, v38
	v_fmac_f16_e32 v99, 0x3aee, v113
	v_fmac_f16_e32 v114, 0xbaee, v100
	v_fmac_f16_e32 v30, -0.5, v116
	v_fmac_f16_e32 v120, -0.5, v126
	v_fmac_f16_e64 v129, -0.5, v130
	v_fmac_f16_e32 v97, 0.5, v32
	v_fmac_f16_e32 v112, 0.5, v33
	v_add_f16_e64 v32, v122, v135
	v_add_f16_e32 v100, v35, v99
	v_add_f16_e32 v122, v111, v114
	v_sub_f16_e32 v99, v35, v99
	v_sub_f16_e32 v111, v111, v114
	v_fmamk_f16 v35, v121, 0x3aee, v30
	v_fmac_f16_e32 v30, 0xbaee, v121
	v_fmamk_f16 v114, v127, 0x3aee, v120
	v_fma_f16 v121, 0xbaee, v131, v129
	v_fmac_f16_e32 v120, 0xbaee, v127
	v_fmac_f16_e64 v129, 0x3aee, v131
	v_sub_f16_e32 v124, v29, v37
	v_pack_b32_f16 v41, v31, v41
	v_pack_b32_f16 v42, v42, v94
	v_add_f16_e32 v29, v115, v37
	v_fmac_f16_e32 v34, -0.5, v123
	v_add_f16_e32 v31, v125, v38
	v_add_f16_e32 v94, v39, v97
	;; [unrolled: 1-line block ×3, first 2 shown]
	v_sub_f16_e32 v97, v39, v97
	v_sub_f16_e32 v112, v40, v112
	v_mul_f16_e32 v37, 0x3aee, v121
	v_mul_f16_e32 v38, -0.5, v120
	v_mul_f16_e32 v39, 0xbaee, v114
	v_mul_f16_e64 v40, -0.5, v129
	v_add_f16_e64 v33, v128, v137
	v_fmamk_f16 v36, v124, 0xbaee, v34
	v_fmac_f16_e32 v34, 0x3aee, v124
	v_fmac_f16_e32 v37, 0.5, v114
	v_fmac_f16_e64 v38, 0x3aee, v129
	v_fmac_f16_e32 v39, 0.5, v121
	v_fmac_f16_e32 v40, 0xbaee, v120
	v_sub_f16_e32 v115, v29, v31
	v_sub_f16_e32 v116, v32, v33
	v_pack_b32_f16 v123, v94, v113
	v_pack_b32_f16 v97, v97, v112
	;; [unrolled: 1-line block ×3, first 2 shown]
	v_sub_f16_e32 v111, v35, v37
	v_sub_f16_e32 v112, v30, v38
	;; [unrolled: 1-line block ×4, first 2 shown]
	v_mad_u16 v94, 0x21c, v102, v117
	v_pack_b32_f16 v100, v100, v122
	ds_store_2addr_b32 v83, v41, v123 offset1:90
	ds_store_2addr_b32 v118, v100, v42 offset0:52 offset1:142
	ds_store_2addr_b32 v119, v97, v99 offset0:104 offset1:194
	s_and_saveexec_b32 s1, s0
	s_cbranch_execz .LBB0_13
; %bb.12:
	v_add_f16_e32 v32, v32, v33
	v_and_b32_e32 v33, 0xffff, v94
	v_add_f16_e32 v36, v36, v39
	v_add_f16_e32 v29, v29, v31
	;; [unrolled: 1-line block ×5, first 2 shown]
	v_lshlrev_b32_e32 v33, 2, v33
	v_pack_b32_f16 v29, v29, v32
	v_pack_b32_f16 v31, v31, v36
	v_perm_b32 v32, v116, v115, 0x5040100
	v_pack_b32_f16 v30, v30, v34
	v_add_nc_u32_e32 v34, 0x200, v33
	v_perm_b32 v35, v113, v111, 0x5040100
	v_perm_b32 v36, v114, v112, 0x5040100
	v_add_nc_u32_e32 v37, 0x400, v33
	ds_store_2addr_b32 v33, v29, v31 offset1:90
	ds_store_2addr_b32 v34, v30, v32 offset0:52 offset1:142
	ds_store_2addr_b32 v37, v35, v36 offset0:104 offset1:194
.LBB0_13:
	s_wait_alu 0xfffe
	s_or_b32 exec_lo, exec_lo, s1
	v_add_nc_u32_e32 v29, 0x500, v45
	v_add_nc_u32_e32 v30, 0x1000, v45
	;; [unrolled: 1-line block ×3, first 2 shown]
	global_wb scope:SCOPE_SE
	s_wait_dscnt 0x0
	s_barrier_signal -1
	s_barrier_wait -1
	global_inv scope:SCOPE_SE
	ds_load_2addr_b32 v[37:38], v45 offset1:162
	ds_load_2addr_b32 v[35:36], v29 offset0:4 offset1:220
	ds_load_2addr_b32 v[41:42], v30 offset0:56 offset1:218
	;; [unrolled: 1-line block ×3, first 2 shown]
	ds_load_b32 v118, v45 offset:5616
	v_add_co_u32 v33, s1, s8, v45
	s_wait_alu 0xf1ff
	v_add_co_ci_u32_e64 v34, null, s9, 0, s1
	s_and_saveexec_b32 s1, vcc_lo
	s_cbranch_execz .LBB0_15
; %bb.14:
	ds_load_b32 v115, v45 offset:1944
	ds_load_b32 v111, v45 offset:4104
	;; [unrolled: 1-line block ×3, first 2 shown]
	s_wait_dscnt 0x2
	v_lshrrev_b32_e32 v116, 16, v115
	s_wait_dscnt 0x1
	v_lshrrev_b32_e32 v113, 16, v111
	;; [unrolled: 2-line block ×3, first 2 shown]
.LBB0_15:
	s_wait_alu 0xfffe
	s_or_b32 exec_lo, exec_lo, s1
	v_lshlrev_b64_e32 v[27:28], 3, v[27:28]
	v_lshlrev_b64_e32 v[25:26], 3, v[25:26]
	v_lshlrev_b32_e32 v29, 3, v57
	s_wait_dscnt 0x3
	v_lshrrev_b32_e32 v120, 16, v36
	s_wait_dscnt 0x2
	v_lshrrev_b32_e32 v121, 16, v41
	;; [unrolled: 2-line block ×3, first 2 shown]
	v_add_co_u32 v27, s1, s10, v27
	s_wait_alu 0xf1ff
	v_add_co_ci_u32_e64 v28, s1, s11, v28, s1
	v_add_co_u32 v25, s1, s10, v25
	s_wait_alu 0xf1ff
	v_add_co_ci_u32_e64 v26, s1, s11, v26, s1
	s_clause 0x2
	global_load_b64 v[31:32], v29, s[10:11] offset:2120
	global_load_b64 v[29:30], v[27:28], off offset:2120
	global_load_b64 v[27:28], v[25:26], off offset:2120
	v_add_co_u32 v25, s1, 0xffffffca, v57
	s_wait_alu 0xf1ff
	v_add_co_ci_u32_e64 v26, null, 0, -1, s1
	v_lshrrev_b32_e32 v124, 16, v42
	s_delay_alu instid0(VALU_DEP_3) | instskip(SKIP_1) | instid1(VALU_DEP_4)
	v_cndmask_b32_e32 v25, v25, v95, vcc_lo
	v_lshrrev_b32_e32 v126, 16, v40
	v_cndmask_b32_e32 v26, v26, v96, vcc_lo
	s_wait_dscnt 0x0
	v_lshrrev_b32_e32 v127, 16, v118
	v_lshrrev_b32_e32 v119, 16, v37
	;; [unrolled: 1-line block ×4, first 2 shown]
	v_lshlrev_b64_e32 v[25:26], 3, v[25:26]
	s_delay_alu instid0(VALU_DEP_1) | instskip(SKIP_1) | instid1(VALU_DEP_2)
	v_add_co_u32 v25, s1, s10, v25
	s_wait_alu 0xf1ff
	v_add_co_ci_u32_e64 v26, s1, s11, v26, s1
	global_load_b64 v[25:26], v[25:26], off offset:2120
	s_wait_loadcnt 0x3
	v_lshrrev_b32_e32 v102, 16, v31
	v_lshrrev_b32_e32 v99, 16, v32
	s_wait_loadcnt 0x2
	v_lshrrev_b32_e32 v100, 16, v29
	v_lshrrev_b32_e32 v97, 16, v30
	s_wait_loadcnt 0x1
	v_lshrrev_b32_e32 v96, 16, v27
	v_mul_f16_e64 v128, v120, v102
	v_mul_f16_e64 v129, v36, v102
	;; [unrolled: 1-line block ×4, first 2 shown]
	v_lshrrev_b32_e32 v95, 16, v28
	v_fma_f16 v36, v36, v31, -v128
	v_fmac_f16_e64 v129, v120, v31
	v_fma_f16 v120, v41, v32, -v130
	v_fmac_f16_e64 v131, v121, v32
	v_mul_f16_e32 v41, v123, v100
	v_mul_f16_e32 v121, v39, v100
	v_mul_f16_e64 v128, v124, v97
	v_mul_f16_e64 v130, v42, v97
	;; [unrolled: 1-line block ×5, first 2 shown]
	v_add_f16_e64 v137, v36, v120
	v_fma_f16 v39, v39, v29, -v41
	v_fmac_f16_e32 v121, v123, v29
	v_fma_f16 v123, v42, v30, -v128
	v_mul_f16_e64 v133, v40, v96
	v_add_f16_e64 v136, v37, v36
	v_sub_f16_e64 v138, v129, v131
	s_wait_loadcnt 0x0
	v_lshrrev_b32_e32 v42, 16, v25
	v_lshrrev_b32_e32 v41, 16, v26
	v_add_f16_e64 v139, v119, v129
	v_add_f16_e64 v129, v129, v131
	v_sub_f16_e64 v140, v36, v120
	v_fmac_f16_e64 v130, v124, v30
	v_fma_f16 v40, v40, v27, -v132
	v_fma_f16 v118, v118, v28, -v134
	v_fmac_f16_e64 v135, v127, v28
	v_fma_f16 v124, -0.5, v137, v37
	v_mul_f16_e32 v127, v113, v42
	v_mul_f16_e32 v37, v111, v42
	v_mul_f16_e64 v128, v114, v41
	v_mul_f16_e32 v36, v112, v41
	v_fmac_f16_e64 v133, v126, v27
	v_add_f16_e64 v120, v136, v120
	v_add_f16_e64 v126, v139, v131
	v_fmac_f16_e64 v119, -0.5, v129
	v_add_f16_e64 v129, v38, v39
	v_add_f16_e64 v131, v39, v123
	;; [unrolled: 1-line block ×3, first 2 shown]
	v_sub_f16_e64 v136, v39, v123
	v_add_f16_e64 v137, v35, v40
	v_add_f16_e64 v139, v40, v118
	v_sub_f16_e64 v143, v40, v118
	v_fma_f16 v39, v111, v25, -v127
	v_fmac_f16_e32 v37, v113, v25
	v_fma_f16 v40, v112, v26, -v128
	v_fmac_f16_e32 v36, v114, v26
	v_sub_f16_e64 v132, v121, v130
	v_add_f16_e64 v121, v121, v130
	v_sub_f16_e64 v141, v133, v135
	v_add_f16_e64 v142, v125, v133
	v_add_f16_e64 v133, v133, v135
	;; [unrolled: 1-line block ×4, first 2 shown]
	v_add_f16_e32 v127, v39, v40
	v_add_f16_e64 v129, v37, v36
	v_fmac_f16_e64 v38, -0.5, v131
	v_fmac_f16_e32 v122, -0.5, v121
	v_fma_f16 v144, 0x3aee, v138, v124
	v_fmac_f16_e64 v124, 0xbaee, v138
	v_fma_f16 v138, 0xbaee, v140, v119
	v_fmac_f16_e64 v119, 0x3aee, v140
	v_fmac_f16_e64 v35, -0.5, v139
	v_fmac_f16_e64 v125, -0.5, v133
	v_add_f16_e64 v113, v137, v118
	v_add_f16_e64 v114, v142, v135
	v_sub_f16_e64 v128, v37, v36
	v_sub_f16_e64 v130, v39, v40
	v_pack_b32_f16 v131, v111, v112
	v_fma_f16 v111, -0.5, v127, v115
	v_fma_f16 v112, -0.5, v129, v116
	v_fma_f16 v121, 0x3aee, v132, v38
	v_fmac_f16_e64 v38, 0xbaee, v132
	v_fma_f16 v123, 0xbaee, v136, v122
	v_fmac_f16_e64 v122, 0x3aee, v136
	v_pack_b32_f16 v120, v120, v126
	v_pack_b32_f16 v118, v144, v138
	;; [unrolled: 1-line block ×3, first 2 shown]
	v_fma_f16 v124, 0x3aee, v141, v35
	v_fma_f16 v126, 0xbaee, v143, v125
	v_fmac_f16_e64 v35, 0xbaee, v141
	v_fmac_f16_e64 v125, 0x3aee, v143
	v_pack_b32_f16 v132, v113, v114
	v_fma_f16 v113, 0x3aee, v128, v111
	v_fmac_f16_e64 v111, 0xbaee, v128
	v_fma_f16 v114, 0xbaee, v130, v112
	v_fmac_f16_e64 v112, 0x3aee, v130
	v_pack_b32_f16 v38, v38, v122
	ds_store_b32 v45, v118 offset:2160
	ds_store_b32 v45, v119 offset:4320
	v_pack_b32_f16 v118, v121, v123
	v_pack_b32_f16 v119, v124, v126
	;; [unrolled: 1-line block ×3, first 2 shown]
	ds_store_2addr_b32 v45, v120, v131 offset1:162
	ds_store_b32 v45, v38 offset:4968
	ds_store_b32 v45, v132 offset:1296
	ds_store_2addr_b32 v117, v118, v119 offset0:62 offset1:224
	ds_store_b32 v45, v35 offset:5616
	s_and_saveexec_b32 s1, vcc_lo
	s_cbranch_execz .LBB0_17
; %bb.16:
	v_add_f16_e32 v35, v116, v37
	v_add_f16_e32 v37, v115, v39
	s_delay_alu instid0(VALU_DEP_2) | instskip(NEXT) | instid1(VALU_DEP_2)
	v_add_f16_e32 v35, v35, v36
	v_add_f16_e32 v36, v37, v40
	v_perm_b32 v37, v112, v111, 0x5040100
	s_delay_alu instid0(VALU_DEP_2)
	v_pack_b32_f16 v35, v36, v35
	v_perm_b32 v36, v114, v113, 0x5040100
	ds_store_b32 v45, v35 offset:1944
	ds_store_b32 v45, v36 offset:4104
	;; [unrolled: 1-line block ×3, first 2 shown]
.LBB0_17:
	s_wait_alu 0xfffe
	s_or_b32 exec_lo, exec_lo, s1
	s_add_nc_u64 s[2:3], s[8:9], 0x1950
	global_wb scope:SCOPE_SE
	s_wait_dscnt 0x0
	s_barrier_signal -1
	s_barrier_wait -1
	global_inv scope:SCOPE_SE
	s_clause 0x9
	global_load_b32 v35, v[33:34], off offset:6480
	global_load_b32 v36, v45, s[2:3] offset:648
	global_load_b32 v115, v45, s[2:3] offset:1296
	global_load_b32 v116, v45, s[2:3] offset:1944
	global_load_b32 v117, v45, s[2:3] offset:2592
	global_load_b32 v118, v45, s[2:3] offset:3240
	global_load_b32 v119, v45, s[2:3] offset:3888
	global_load_b32 v120, v45, s[2:3] offset:4536
	global_load_b32 v121, v45, s[2:3] offset:5184
	global_load_b32 v122, v45, s[2:3] offset:5832
	ds_load_2addr_b32 v[33:34], v45 offset1:162
	v_add_nc_u32_e32 v125, 0xe00, v45
	v_add_nc_u32_e32 v126, 0x1400, v45
	s_wait_dscnt 0x0
	v_lshrrev_b32_e32 v37, 16, v33
	v_lshrrev_b32_e32 v39, 16, v34
	s_wait_loadcnt 0x9
	v_lshrrev_b32_e32 v38, 16, v35
	s_wait_loadcnt 0x8
	;; [unrolled: 2-line block ×5, first 2 shown]
	v_lshrrev_b32_e32 v129, 16, v117
	v_mul_f16_e32 v123, v37, v38
	v_mul_f16_e32 v38, v33, v38
	;; [unrolled: 1-line block ×4, first 2 shown]
	s_wait_loadcnt 0x4
	v_lshrrev_b32_e32 v130, 16, v118
	v_fma_f16 v33, v33, v35, -v123
	v_fmac_f16_e32 v38, v37, v35
	v_fma_f16 v34, v34, v36, -v124
	v_fmac_f16_e32 v40, v39, v36
	v_add_nc_u32_e32 v123, 0x400, v45
	v_add_nc_u32_e32 v124, 0xa00, v45
	v_pack_b32_f16 v33, v33, v38
	s_wait_loadcnt 0x3
	v_lshrrev_b32_e32 v131, 16, v119
	v_pack_b32_f16 v34, v34, v40
	s_wait_loadcnt 0x2
	v_lshrrev_b32_e32 v132, 16, v120
	s_wait_loadcnt 0x1
	v_lshrrev_b32_e32 v133, 16, v121
	;; [unrolled: 2-line block ×3, first 2 shown]
	ds_store_2addr_b32 v45, v33, v34 offset1:162
	ds_load_2addr_b32 v[33:34], v123 offset0:68 offset1:230
	ds_load_2addr_b32 v[35:36], v124 offset0:8 offset1:170
	;; [unrolled: 1-line block ×4, first 2 shown]
	s_wait_dscnt 0x3
	v_lshrrev_b32_e32 v135, 16, v33
	v_lshrrev_b32_e32 v137, 16, v34
	s_wait_dscnt 0x2
	v_lshrrev_b32_e32 v139, 16, v35
	v_lshrrev_b32_e32 v141, 16, v36
	;; [unrolled: 3-line block ×4, first 2 shown]
	v_mul_f16_e64 v136, v33, v127
	v_mul_f16_e64 v138, v34, v128
	;; [unrolled: 1-line block ×16, first 2 shown]
	v_fmac_f16_e64 v136, v135, v115
	v_fmac_f16_e64 v138, v137, v116
	v_fma_f16 v33, v33, v115, -v127
	v_fma_f16 v34, v34, v116, -v128
	v_fmac_f16_e64 v140, v139, v117
	v_fmac_f16_e64 v142, v141, v118
	v_fma_f16 v35, v35, v117, -v129
	v_fma_f16 v36, v36, v118, -v130
	;; [unrolled: 4-line block ×4, first 2 shown]
	v_pack_b32_f16 v33, v33, v136
	v_pack_b32_f16 v34, v34, v138
	;; [unrolled: 1-line block ×8, first 2 shown]
	ds_store_2addr_b32 v123, v33, v34 offset0:68 offset1:230
	ds_store_2addr_b32 v124, v35, v36 offset0:8 offset1:170
	;; [unrolled: 1-line block ×4, first 2 shown]
	global_wb scope:SCOPE_SE
	s_wait_dscnt 0x0
	s_barrier_signal -1
	s_barrier_wait -1
	global_inv scope:SCOPE_SE
	ds_load_2addr_b32 v[33:34], v124 offset0:8 offset1:170
	ds_load_2addr_b32 v[35:36], v125 offset0:76 offset1:238
	;; [unrolled: 1-line block ×4, first 2 shown]
	ds_load_2addr_b32 v[115:116], v45 offset1:162
	v_add_nc_u32_e32 v119, 0x500, v45
	v_add_nc_u32_e32 v120, 0x1000, v45
	global_wb scope:SCOPE_SE
	s_wait_dscnt 0x0
	s_barrier_signal -1
	s_barrier_wait -1
	global_inv scope:SCOPE_SE
	v_lshrrev_b32_e32 v122, 16, v33
	v_add_f16_e32 v117, v33, v35
	v_lshrrev_b32_e32 v118, 16, v37
	v_lshrrev_b32_e32 v121, 16, v39
	;; [unrolled: 1-line block ×3, first 2 shown]
	v_sub_f16_e32 v125, v39, v35
	v_sub_f16_e32 v126, v37, v33
	v_add_f16_e32 v127, v37, v39
	v_sub_f16_e64 v128, v35, v39
	v_sub_f16_e64 v129, v33, v37
	v_pk_add_f16 v130, v115, v37
	v_add_f16_e64 v133, v34, v36
	v_lshrrev_b32_e32 v134, 16, v38
	v_lshrrev_b32_e32 v135, 16, v40
	;; [unrolled: 1-line block ×4, first 2 shown]
	v_add_f16_e64 v140, v38, v40
	v_pk_add_f16 v143, v116, v38
	v_lshrrev_b32_e32 v131, 16, v115
	v_sub_f16_e64 v132, v33, v35
	v_sub_f16_e64 v139, v38, v34
	;; [unrolled: 1-line block ×3, first 2 shown]
	v_lshrrev_b32_e32 v144, 16, v116
	v_sub_f16_e64 v145, v34, v36
	v_fma_f16 v117, -0.5, v117, v115
	v_sub_f16_e64 v146, v118, v121
	v_sub_f16_e64 v147, v122, v123
	v_add_f16_e32 v125, v126, v125
	v_fma_f16 v115, -0.5, v127, v115
	v_add_f16_e64 v126, v129, v128
	v_pk_add_f16 v33, v130, v33
	v_add_f16_e32 v127, v122, v123
	v_sub_f16_e64 v128, v118, v122
	v_sub_f16_e64 v129, v121, v123
	v_add_f16_e64 v130, v118, v121
	v_sub_f16_e32 v118, v122, v118
	v_sub_f16_e32 v121, v123, v121
	v_fma_f16 v122, -0.5, v133, v116
	v_sub_f16_e64 v123, v134, v135
	v_sub_f16_e64 v133, v136, v137
	v_fma_f16 v116, -0.5, v140, v116
	v_pk_add_f16 v34, v143, v34
	v_add_f16_e64 v140, v136, v137
	v_add_f16_e64 v143, v134, v135
	v_sub_f16_e64 v138, v40, v36
	v_sub_f16_e64 v141, v36, v40
	v_sub_f16_e32 v38, v38, v40
	v_pk_add_f16 v33, v33, v35
	v_fma_f16 v35, -0.5, v127, v131
	v_add_f16_e64 v127, v128, v129
	v_add_f16_e32 v118, v118, v121
	v_fmamk_f16 v121, v123, 0xbb9c, v122
	v_fma_f16 v128, 0x3b9c, v133, v116
	v_fmac_f16_e64 v116, 0xbb9c, v133
	v_pk_add_f16 v34, v34, v36
	v_fma_f16 v129, -0.5, v140, v144
	v_fmac_f16_e64 v144, -0.5, v143
	v_add_f16_e64 v138, v139, v138
	v_add_f16_e64 v139, v142, v141
	v_sub_f16_e64 v141, v134, v136
	v_sub_f16_e64 v142, v135, v137
	v_sub_f16_e64 v134, v136, v134
	v_sub_f16_e64 v135, v137, v135
	v_fmac_f16_e64 v131, -0.5, v130
	v_fmac_f16_e32 v122, 0x3b9c, v123
	v_fmac_f16_e64 v121, 0xb8b4, v133
	v_fmac_f16_e64 v128, 0xb8b4, v123
	v_fmac_f16_e32 v116, 0x38b4, v123
	v_pk_add_f16 v34, v34, v40
	v_fma_f16 v40, 0x3b9c, v38, v129
	v_fma_f16 v123, 0xbb9c, v145, v144
	v_fmac_f16_e64 v144, 0x3b9c, v145
	v_fmac_f16_e64 v129, 0xbb9c, v38
	v_sub_f16_e32 v37, v37, v39
	v_add_f16_e64 v130, v141, v142
	v_add_f16_e64 v134, v134, v135
	v_pk_add_f16 v36, v33, v39
	v_fma_f16 v135, 0xbb9c, v132, v131
	v_fmac_f16_e64 v131, 0x3b9c, v132
	v_fmac_f16_e64 v121, 0x34f2, v138
	;; [unrolled: 1-line block ×3, first 2 shown]
	v_fmac_f16_e32 v123, 0x38b4, v38
	v_fmac_f16_e64 v144, 0xb8b4, v38
	v_fma_f16 v136, 0xbb9c, v146, v117
	v_fmac_f16_e64 v117, 0x3b9c, v146
	v_fma_f16 v137, 0x3b9c, v147, v115
	v_fmac_f16_e64 v115, 0xbb9c, v147
	v_fmac_f16_e64 v129, 0xb8b4, v145
	v_fmamk_f16 v39, v37, 0x3b9c, v35
	v_fmac_f16_e64 v135, 0x38b4, v37
	v_fmac_f16_e64 v131, 0xb8b4, v37
	v_pk_add_f16 v33, v36, v34
	v_pk_add_f16 v36, v36, v34 neg_lo:[0,1] neg_hi:[0,1]
	v_fmac_f16_e64 v40, 0x34f2, v130
	v_fmac_f16_e64 v123, 0x34f2, v134
	;; [unrolled: 1-line block ×3, first 2 shown]
	v_mul_f16_e32 v34, 0x38b4, v121
	v_fmac_f16_e64 v136, 0xb8b4, v147
	v_fmac_f16_e64 v117, 0x38b4, v147
	;; [unrolled: 1-line block ×4, first 2 shown]
	v_fmac_f16_e32 v35, 0xbb9c, v37
	v_fmac_f16_e64 v122, 0x38b4, v133
	v_fmac_f16_e64 v129, 0x34f2, v130
	;; [unrolled: 1-line block ×7, first 2 shown]
	v_mul_f16_e32 v37, 0xb8b4, v40
	v_mul_f16_e32 v38, 0xbb9c, v123
	v_mul_f16_e64 v118, 0xbb9c, v144
	v_fmac_f16_e32 v34, 0x3a79, v40
	v_mul_f16_e32 v40, 0x34f2, v123
	v_mul_f16_e64 v123, 0xb4f2, v144
	v_fmac_f16_e64 v136, 0x34f2, v125
	v_fmac_f16_e32 v117, 0x34f2, v125
	v_fmac_f16_e64 v137, 0x34f2, v126
	v_fmac_f16_e32 v115, 0x34f2, v126
	v_fmac_f16_e64 v35, 0xb8b4, v132
	v_fmac_f16_e64 v122, 0x34f2, v138
	v_mul_f16_e64 v125, 0xb8b4, v129
	v_mul_f16_e64 v126, 0xba79, v129
	v_fmac_f16_e32 v39, 0x34f2, v127
	v_fmac_f16_e32 v37, 0x3a79, v121
	v_fmac_f16_e64 v38, 0x34f2, v128
	v_fmac_f16_e32 v118, 0xb4f2, v116
	v_fmac_f16_e64 v40, 0x3b9c, v128
	v_fmac_f16_e32 v123, 0x3b9c, v116
	v_fmac_f16_e32 v35, 0x34f2, v127
	;; [unrolled: 1-line block ×4, first 2 shown]
	v_add_f16_e32 v121, v39, v34
	v_sub_f16_e32 v39, v39, v34
	v_add_f16_e64 v34, v136, v37
	v_add_f16_e64 v122, v137, v38
	v_add_f16_e32 v127, v115, v118
	v_add_f16_e64 v129, v135, v40
	v_add_f16_e64 v130, v131, v123
	;; [unrolled: 1-line block ×4, first 2 shown]
	v_sub_f16_e64 v133, v136, v37
	v_sub_f16_e64 v134, v137, v38
	;; [unrolled: 1-line block ×4, first 2 shown]
	v_sub_f16_e32 v115, v117, v125
	v_sub_f16_e64 v117, v131, v123
	v_sub_f16_e32 v116, v35, v126
	v_pack_b32_f16 v38, v127, v130
	v_pack_b32_f16 v37, v122, v129
	;; [unrolled: 1-line block ×8, first 2 shown]
	ds_store_2addr_b64 v65, v[33:34], v[37:38] offset1:1
	ds_store_2addr_b64 v65, v[35:36], v[39:40] offset0:2 offset1:3
	ds_store_b64 v65, v[117:118] offset:32
	global_wb scope:SCOPE_SE
	s_wait_dscnt 0x0
	s_barrier_signal -1
	s_barrier_wait -1
	global_inv scope:SCOPE_SE
	ds_load_2addr_b32 v[35:36], v45 offset1:162
	ds_load_2addr_b32 v[33:34], v119 offset0:4 offset1:220
	ds_load_2addr_b32 v[39:40], v120 offset0:56 offset1:218
	;; [unrolled: 1-line block ×3, first 2 shown]
	ds_load_b32 v65, v45 offset:5616
	s_and_saveexec_b32 s1, vcc_lo
	s_cbranch_execz .LBB0_19
; %bb.18:
	ds_load_b32 v115, v45 offset:1944
	ds_load_b32 v113, v45 offset:4104
	;; [unrolled: 1-line block ×3, first 2 shown]
	s_wait_dscnt 0x2
	v_lshrrev_b32_e32 v116, 16, v115
	s_wait_dscnt 0x1
	v_lshrrev_b32_e32 v114, 16, v113
	s_wait_dscnt 0x0
	v_lshrrev_b32_e32 v112, 16, v111
.LBB0_19:
	s_wait_alu 0xfffe
	s_or_b32 exec_lo, exec_lo, s1
	s_wait_dscnt 0x3
	v_lshrrev_b32_e32 v118, 16, v34
	s_wait_dscnt 0x2
	v_lshrrev_b32_e32 v119, 16, v39
	s_wait_dscnt 0x1
	v_lshrrev_b32_e32 v121, 16, v37
	v_lshrrev_b32_e32 v122, 16, v40
	v_lshrrev_b32_e32 v125, 16, v38
	v_mul_f16_e32 v124, v81, v118
	v_mul_f16_e32 v81, v81, v34
	;; [unrolled: 1-line block ×3, first 2 shown]
	s_wait_dscnt 0x0
	v_lshrrev_b32_e32 v126, 16, v65
	v_lshrrev_b32_e32 v117, 16, v35
	v_fmac_f16_e32 v124, v15, v34
	v_mul_f16_e32 v34, v80, v39
	v_mul_f16_e32 v80, v82, v121
	v_fmac_f16_e32 v127, v16, v39
	v_mul_f16_e32 v39, v82, v37
	v_fma_f16 v15, v15, v118, -v81
	v_fma_f16 v16, v16, v119, -v34
	v_mul_f16_e32 v34, v79, v122
	v_fmac_f16_e32 v80, v13, v37
	v_mul_f16_e32 v37, v79, v40
	v_fma_f16 v13, v13, v121, -v39
	v_mul_f16_e32 v39, v78, v125
	v_fmac_f16_e32 v34, v14, v40
	v_mul_f16_e32 v40, v78, v38
	;; [unrolled: 4-line block ×5, first 2 shown]
	v_fma_f16 v9, v9, v114, -v65
	v_add_f16_e32 v65, v124, v127
	v_fmac_f16_e32 v38, v10, v111
	v_add_f16_e32 v76, v35, v124
	v_fma_f16 v10, v10, v112, -v75
	v_add_f16_e32 v75, v15, v16
	v_fma_f16 v65, -0.5, v65, v35
	v_sub_f16_e32 v35, v15, v16
	v_add_f16_e32 v15, v117, v15
	v_lshrrev_b32_e32 v120, 16, v36
	v_fmac_f16_e32 v117, -0.5, v75
	v_sub_f16_e32 v75, v124, v127
	v_fmamk_f16 v77, v35, 0xbaee, v65
	v_add_f16_e32 v15, v15, v16
	v_add_f16_e32 v16, v80, v34
	v_fmac_f16_e32 v65, 0x3aee, v35
	v_fmamk_f16 v78, v75, 0x3aee, v117
	v_add_f16_e32 v35, v36, v80
	v_fmac_f16_e32 v117, 0xbaee, v75
	v_add_f16_e32 v75, v13, v14
	v_fmac_f16_e32 v36, -0.5, v16
	v_sub_f16_e32 v16, v13, v14
	v_add_f16_e32 v13, v120, v13
	v_lshrrev_b32_e32 v123, 16, v33
	v_add_f16_e32 v79, v35, v34
	v_fmac_f16_e32 v120, -0.5, v75
	v_sub_f16_e32 v34, v80, v34
	v_add_f16_e32 v13, v13, v14
	v_add_f16_e32 v14, v39, v37
	v_fmamk_f16 v75, v16, 0xbaee, v36
	v_fmac_f16_e32 v36, 0x3aee, v16
	v_fmamk_f16 v16, v34, 0x3aee, v120
	v_add_f16_e32 v35, v33, v39
	v_fmac_f16_e32 v120, 0xbaee, v34
	v_add_f16_e32 v34, v11, v12
	v_fmac_f16_e32 v33, -0.5, v14
	v_sub_f16_e32 v14, v11, v12
	v_add_f16_e32 v11, v123, v11
	v_add_f16_e32 v76, v76, v127
	v_fmac_f16_e32 v123, -0.5, v34
	v_sub_f16_e32 v34, v39, v37
	v_add_f16_e32 v80, v35, v37
	v_add_f16_e32 v11, v11, v12
	;; [unrolled: 1-line block ×3, first 2 shown]
	v_fmamk_f16 v39, v14, 0xbaee, v33
	v_fmac_f16_e32 v33, 0x3aee, v14
	v_fmamk_f16 v14, v34, 0x3aee, v123
	v_fmac_f16_e32 v123, 0xbaee, v34
	v_add_f16_e32 v34, v9, v10
	v_add_f16_e32 v35, v115, v40
	v_fmac_f16_e32 v115, -0.5, v12
	v_sub_f16_e32 v12, v9, v10
	v_add_f16_e32 v9, v116, v9
	v_fmac_f16_e32 v116, -0.5, v34
	v_sub_f16_e32 v40, v40, v38
	v_add_f16_e32 v34, v35, v38
	v_fmamk_f16 v37, v12, 0xbaee, v115
	v_add_f16_e32 v35, v9, v10
	v_pack_b32_f16 v9, v76, v15
	v_pack_b32_f16 v10, v77, v78
	v_fmac_f16_e32 v115, 0x3aee, v12
	v_fmamk_f16 v38, v40, 0x3aee, v116
	v_fmac_f16_e32 v116, 0xbaee, v40
	global_wb scope:SCOPE_SE
	s_barrier_signal -1
	s_barrier_wait -1
	global_inv scope:SCOPE_SE
	ds_store_2addr_b32 v70, v9, v10 offset1:10
	v_pack_b32_f16 v9, v65, v117
	v_pack_b32_f16 v10, v79, v13
	;; [unrolled: 1-line block ×7, first 2 shown]
	ds_store_b32 v70, v9 offset:80
	ds_store_2addr_b32 v69, v10, v12 offset1:10
	ds_store_b32 v69, v13 offset:80
	ds_store_2addr_b32 v68, v11, v14 offset1:10
	ds_store_b32 v68, v15 offset:80
	s_and_saveexec_b32 s1, vcc_lo
	s_cbranch_execz .LBB0_21
; %bb.20:
	v_mad_u16 v9, v66, 30, v67
	v_perm_b32 v10, v35, v34, 0x5040100
	v_perm_b32 v11, v38, v37, 0x5040100
	;; [unrolled: 1-line block ×3, first 2 shown]
	s_delay_alu instid0(VALU_DEP_4) | instskip(NEXT) | instid1(VALU_DEP_1)
	v_and_b32_e32 v9, 0xffff, v9
	v_lshlrev_b32_e32 v9, 2, v9
	ds_store_2addr_b32 v9, v10, v11 offset1:10
	ds_store_b32 v9, v12 offset:80
.LBB0_21:
	s_wait_alu 0xfffe
	s_or_b32 exec_lo, exec_lo, s1
	v_add_nc_u32_e32 v9, 0x500, v45
	v_add_nc_u32_e32 v13, 0x1000, v45
	;; [unrolled: 1-line block ×3, first 2 shown]
	global_wb scope:SCOPE_SE
	s_wait_dscnt 0x0
	s_barrier_signal -1
	s_barrier_wait -1
	global_inv scope:SCOPE_SE
	ds_load_2addr_b32 v[11:12], v45 offset1:162
	ds_load_2addr_b32 v[9:10], v9 offset0:4 offset1:220
	ds_load_2addr_b32 v[15:16], v13 offset0:56 offset1:218
	;; [unrolled: 1-line block ×3, first 2 shown]
	ds_load_b32 v36, v45 offset:5616
	s_and_saveexec_b32 s1, vcc_lo
	s_cbranch_execz .LBB0_23
; %bb.22:
	ds_load_b32 v34, v45 offset:1944
	ds_load_b32 v37, v45 offset:4104
	;; [unrolled: 1-line block ×3, first 2 shown]
	s_wait_dscnt 0x2
	v_lshrrev_b32_e32 v35, 16, v34
	s_wait_dscnt 0x1
	v_lshrrev_b32_e32 v38, 16, v37
	;; [unrolled: 2-line block ×3, first 2 shown]
.LBB0_23:
	s_wait_alu 0xfffe
	s_or_b32 exec_lo, exec_lo, s1
	s_wait_dscnt 0x3
	v_lshrrev_b32_e32 v40, 16, v10
	s_wait_dscnt 0x2
	v_lshrrev_b32_e32 v65, 16, v15
	;; [unrolled: 2-line block ×3, first 2 shown]
	v_mul_f16_e32 v75, v93, v10
	v_lshrrev_b32_e32 v68, 16, v16
	v_mul_f16_e32 v69, v93, v40
	v_mul_f16_e32 v77, v92, v65
	v_lshrrev_b32_e32 v70, 16, v14
	s_wait_dscnt 0x0
	v_lshrrev_b32_e32 v76, 16, v36
	v_lshrrev_b32_e32 v39, 16, v11
	v_fmac_f16_e32 v69, v23, v10
	v_mul_f16_e32 v10, v92, v15
	v_fma_f16 v23, v23, v40, -v75
	v_mul_f16_e32 v40, v91, v67
	v_fmac_f16_e32 v77, v24, v15
	v_mul_f16_e32 v15, v91, v13
	v_fma_f16 v10, v24, v65, -v10
	v_mul_f16_e32 v24, v90, v68
	;; [unrolled: 4-line block ×6, first 2 shown]
	v_fmac_f16_e32 v19, v17, v37
	v_mul_f16_e32 v37, v86, v115
	v_fma_f16 v17, v17, v38, -v36
	v_add_f16_e32 v36, v69, v77
	v_fmac_f16_e32 v20, v18, v115
	v_add_f16_e32 v38, v11, v69
	v_fma_f16 v18, v18, v116, -v37
	v_add_f16_e32 v37, v23, v10
	v_fma_f16 v36, -0.5, v36, v11
	v_sub_f16_e32 v11, v23, v10
	v_add_f16_e32 v23, v39, v23
	v_lshrrev_b32_e32 v66, 16, v12
	v_fmac_f16_e32 v39, -0.5, v37
	v_sub_f16_e32 v37, v69, v77
	v_fmamk_f16 v65, v11, 0xbaee, v36
	v_add_f16_e32 v23, v23, v10
	v_add_f16_e32 v10, v40, v24
	v_fmac_f16_e32 v36, 0x3aee, v11
	v_fmamk_f16 v67, v37, 0x3aee, v39
	v_add_f16_e32 v11, v12, v40
	v_fmac_f16_e32 v39, 0xbaee, v37
	v_add_f16_e32 v37, v15, v13
	v_fmac_f16_e32 v12, -0.5, v10
	v_sub_f16_e32 v10, v15, v13
	v_add_f16_e32 v68, v11, v24
	v_add_f16_e32 v11, v66, v15
	v_fmac_f16_e32 v66, -0.5, v37
	v_sub_f16_e32 v15, v40, v24
	v_fmamk_f16 v24, v10, 0xbaee, v12
	v_fmac_f16_e32 v12, 0x3aee, v10
	v_add_f16_e32 v10, v21, v22
	v_lshrrev_b32_e32 v33, 16, v9
	v_add_f16_e32 v37, v11, v13
	v_fmamk_f16 v40, v15, 0x3aee, v66
	v_add_f16_e32 v11, v9, v21
	v_fmac_f16_e32 v66, 0xbaee, v15
	v_add_f16_e32 v13, v16, v14
	v_fmac_f16_e32 v9, -0.5, v10
	v_sub_f16_e32 v15, v16, v14
	v_add_f16_e32 v10, v11, v22
	v_add_f16_e32 v11, v33, v16
	v_fmac_f16_e32 v33, -0.5, v13
	v_sub_f16_e32 v21, v21, v22
	v_fmamk_f16 v13, v15, 0xbaee, v9
	v_fmac_f16_e32 v9, 0x3aee, v15
	v_add_f16_e32 v15, v17, v18
	v_add_f16_e32 v38, v38, v77
	v_add_f16_e32 v11, v11, v14
	v_add_f16_e32 v14, v19, v20
	v_fmamk_f16 v16, v21, 0x3aee, v33
	v_fmac_f16_e32 v33, 0xbaee, v21
	v_add_f16_e32 v21, v34, v19
	v_sub_f16_e32 v22, v17, v18
	v_add_f16_e32 v17, v35, v17
	v_fmac_f16_e32 v35, -0.5, v15
	v_sub_f16_e32 v19, v19, v20
	v_fmac_f16_e32 v34, -0.5, v14
	v_add_f16_e32 v15, v21, v20
	v_add_f16_e32 v18, v17, v18
	v_pack_b32_f16 v20, v65, v67
	v_fmamk_f16 v17, v19, 0x3aee, v35
	v_fmac_f16_e32 v35, 0xbaee, v19
	v_pack_b32_f16 v19, v38, v23
	v_fmamk_f16 v14, v22, 0xbaee, v34
	v_fmac_f16_e32 v34, 0x3aee, v22
	global_wb scope:SCOPE_SE
	s_barrier_signal -1
	s_barrier_wait -1
	global_inv scope:SCOPE_SE
	ds_store_2addr_b32 v74, v19, v20 offset1:30
	v_pack_b32_f16 v19, v36, v39
	v_pack_b32_f16 v20, v68, v37
	;; [unrolled: 1-line block ×7, first 2 shown]
	ds_store_b32 v74, v19 offset:240
	ds_store_2addr_b32 v73, v20, v21 offset1:30
	ds_store_b32 v73, v12 offset:240
	ds_store_2addr_b32 v72, v22, v23 offset1:30
	ds_store_b32 v72, v24 offset:240
	s_and_saveexec_b32 s1, vcc_lo
	s_cbranch_execz .LBB0_25
; %bb.24:
	v_and_b32_e32 v12, 0xffff, v71
	v_perm_b32 v19, v18, v15, 0x5040100
	v_perm_b32 v20, v17, v14, 0x5040100
	;; [unrolled: 1-line block ×3, first 2 shown]
	s_delay_alu instid0(VALU_DEP_4)
	v_lshlrev_b32_e32 v12, 2, v12
	ds_store_2addr_b32 v12, v19, v20 offset1:30
	ds_store_b32 v12, v21 offset:240
.LBB0_25:
	s_wait_alu 0xfffe
	s_or_b32 exec_lo, exec_lo, s1
	global_wb scope:SCOPE_SE
	s_wait_dscnt 0x0
	s_barrier_signal -1
	s_barrier_wait -1
	global_inv scope:SCOPE_SE
	ds_load_b32 v12, v45
	ds_load_b32 v23, v45 offset:1080
	ds_load_b32 v22, v45 offset:2160
	;; [unrolled: 1-line block ×5, first 2 shown]
	s_and_saveexec_b32 s1, s0
	s_cbranch_execz .LBB0_27
; %bb.26:
	ds_load_b32 v10, v45 offset:648
	ds_load_b32 v13, v45 offset:1728
	;; [unrolled: 1-line block ×6, first 2 shown]
	s_wait_dscnt 0x5
	v_lshrrev_b32_e32 v11, 16, v10
	s_wait_dscnt 0x4
	v_lshrrev_b32_e32 v16, 16, v13
	;; [unrolled: 2-line block ×6, first 2 shown]
.LBB0_27:
	s_wait_alu 0xfffe
	s_or_b32 exec_lo, exec_lo, s1
	s_wait_dscnt 0x4
	v_lshrrev_b32_e32 v24, 16, v23
	s_wait_dscnt 0x3
	v_lshrrev_b32_e32 v37, 16, v22
	;; [unrolled: 2-line block ×4, first 2 shown]
	v_mul_f16_e32 v65, v110, v23
	v_mul_f16_e32 v40, v110, v24
	;; [unrolled: 1-line block ×3, first 2 shown]
	s_wait_dscnt 0x0
	v_lshrrev_b32_e32 v66, 16, v19
	v_mul_f16_e32 v68, v109, v22
	v_lshrrev_b32_e32 v36, 16, v12
	v_fmac_f16_e32 v40, v4, v23
	v_mul_f16_e32 v23, v107, v38
	v_fma_f16 v4, v4, v24, -v65
	v_fmac_f16_e32 v67, v5, v22
	v_mul_f16_e32 v22, v107, v21
	v_mul_f16_e32 v24, v105, v39
	v_fmac_f16_e32 v23, v6, v21
	v_mul_f16_e32 v21, v105, v20
	v_fma_f16 v5, v5, v37, -v68
	v_fma_f16 v6, v6, v38, -v22
	v_mul_f16_e32 v22, v103, v66
	v_fmac_f16_e32 v24, v7, v20
	v_fma_f16 v7, v7, v39, -v21
	v_mul_f16_e32 v21, v108, v16
	v_mul_f16_e32 v20, v103, v19
	v_fmac_f16_e32 v22, v85, v19
	v_mul_f16_e32 v19, v108, v13
	v_mul_f16_e32 v37, v106, v33
	v_fmac_f16_e32 v21, v0, v13
	v_mul_f16_e32 v13, v106, v9
	v_fma_f16 v20, v85, v66, -v20
	v_fma_f16 v16, v0, v16, -v19
	v_mul_f16_e32 v19, v104, v18
	v_fmac_f16_e32 v37, v1, v9
	v_mul_f16_e32 v0, v104, v15
	v_fma_f16 v1, v1, v33, -v13
	v_mul_f16_e32 v9, v101, v17
	v_mul_f16_e32 v13, v101, v14
	v_fmac_f16_e32 v19, v2, v15
	v_fma_f16 v15, v2, v18, -v0
	v_mul_f16_e32 v0, v98, v34
	v_fmac_f16_e32 v9, v3, v14
	v_fma_f16 v2, v3, v17, -v13
	v_add_f16_e32 v3, v67, v24
	v_add_f16_e32 v13, v12, v67
	v_fma_f16 v14, v84, v35, -v0
	v_add_f16_e32 v0, v5, v7
	v_add_f16_e32 v33, v4, v6
	v_fmac_f16_e32 v12, -0.5, v3
	v_sub_f16_e32 v3, v5, v7
	v_add_f16_e32 v13, v13, v24
	v_add_f16_e32 v5, v36, v5
	v_fmac_f16_e32 v36, -0.5, v0
	v_sub_f16_e32 v0, v67, v24
	v_fmamk_f16 v17, v3, 0xbaee, v12
	v_fmac_f16_e32 v12, 0x3aee, v3
	v_add_f16_e32 v3, v6, v20
	v_add_f16_e32 v24, v23, v22
	;; [unrolled: 1-line block ×3, first 2 shown]
	v_fmamk_f16 v7, v0, 0x3aee, v36
	v_sub_f16_e32 v6, v6, v20
	v_fmac_f16_e32 v4, -0.5, v3
	v_sub_f16_e32 v3, v23, v22
	v_add_f16_e32 v23, v40, v23
	v_fmac_f16_e32 v40, -0.5, v24
	v_fmac_f16_e32 v36, 0xbaee, v0
	v_mul_f16_e32 v18, v98, v35
	v_fmamk_f16 v0, v3, 0x3aee, v4
	v_fmac_f16_e32 v4, 0xbaee, v3
	v_add_f16_e32 v3, v23, v22
	v_fmamk_f16 v22, v6, 0xbaee, v40
	v_fmac_f16_e32 v40, 0x3aee, v6
	v_mul_f16_e32 v6, 0xbaee, v0
	v_mul_f16_e32 v23, 0xbaee, v4
	v_mul_f16_e32 v0, 0.5, v0
	v_mul_f16_e32 v4, -0.5, v4
	v_add_f16_e32 v20, v33, v20
	v_fmac_f16_e32 v6, 0.5, v22
	v_fmac_f16_e32 v18, v84, v34
	v_fmac_f16_e32 v0, 0x3aee, v22
	;; [unrolled: 1-line block ×3, first 2 shown]
	v_fmac_f16_e32 v23, -0.5, v40
	v_add_f16_e32 v24, v13, v3
	v_add_f16_e32 v22, v17, v6
	;; [unrolled: 1-line block ×5, first 2 shown]
	v_sub_f16_e32 v39, v13, v3
	v_sub_f16_e32 v40, v17, v6
	v_sub_f16_e32 v20, v5, v20
	v_add_f16_e32 v3, v37, v9
	v_sub_f16_e32 v65, v7, v0
	v_add_f16_e32 v0, v10, v37
	v_sub_f16_e32 v36, v36, v4
	v_add_f16_e32 v4, v1, v2
	v_add_f16_e32 v5, v11, v1
	;; [unrolled: 1-line block ×3, first 2 shown]
	v_fmac_f16_e32 v10, -0.5, v3
	v_sub_f16_e32 v3, v1, v2
	v_add_f16_e32 v0, v0, v9
	v_fmac_f16_e32 v11, -0.5, v4
	v_sub_f16_e32 v4, v37, v9
	v_add_f16_e32 v2, v5, v2
	v_add_f16_e32 v5, v19, v18
	v_add_f16_e32 v9, v16, v15
	v_fmac_f16_e32 v16, -0.5, v6
	v_sub_f16_e32 v6, v19, v18
	v_add_f16_e32 v33, v12, v23
	v_sub_f16_e32 v23, v12, v23
	v_add_f16_e32 v7, v21, v19
	v_fmac_f16_e32 v21, -0.5, v5
	v_sub_f16_e32 v5, v15, v14
	v_fmamk_f16 v12, v6, 0x3aee, v16
	v_fmac_f16_e32 v16, 0xbaee, v6
	v_fmamk_f16 v1, v3, 0xbaee, v10
	v_fmac_f16_e32 v10, 0x3aee, v3
	;; [unrolled: 2-line block ×3, first 2 shown]
	v_add_f16_e32 v4, v7, v18
	v_fmamk_f16 v13, v5, 0xbaee, v21
	v_fmac_f16_e32 v21, 0x3aee, v5
	v_mul_f16_e32 v5, 0xbaee, v12
	v_mul_f16_e32 v6, 0xbaee, v16
	v_mul_f16_e32 v7, 0.5, v12
	v_mul_f16_e32 v18, -0.5, v16
	v_add_f16_e32 v17, v9, v14
	v_fmac_f16_e32 v5, 0.5, v13
	v_fmac_f16_e32 v6, -0.5, v21
	v_fmac_f16_e32 v7, 0x3aee, v13
	v_fmac_f16_e32 v18, 0x3aee, v21
	v_sub_f16_e32 v9, v0, v4
	v_sub_f16_e32 v13, v1, v5
	;; [unrolled: 1-line block ×6, first 2 shown]
	v_pack_b32_f16 v19, v24, v34
	v_pack_b32_f16 v21, v22, v35
	v_pack_b32_f16 v22, v33, v38
	v_pack_b32_f16 v20, v39, v20
	v_add_nc_u32_e32 v24, 0x200, v83
	v_pack_b32_f16 v33, v40, v65
	v_pack_b32_f16 v23, v23, v36
	v_add_nc_u32_e32 v34, 0x400, v83
	global_wb scope:SCOPE_SE
	s_barrier_signal -1
	s_barrier_wait -1
	global_inv scope:SCOPE_SE
	ds_store_2addr_b32 v83, v19, v21 offset1:90
	ds_store_2addr_b32 v24, v22, v20 offset0:52 offset1:142
	ds_store_2addr_b32 v34, v33, v23 offset0:104 offset1:194
	s_and_saveexec_b32 s1, s0
	s_cbranch_execz .LBB0_29
; %bb.28:
	v_add_f16_e32 v3, v3, v7
	v_and_b32_e32 v7, 0xffff, v94
	v_add_f16_e32 v2, v2, v17
	v_add_f16_e32 v0, v0, v4
	;; [unrolled: 1-line block ×5, first 2 shown]
	v_lshlrev_b32_e32 v5, 2, v7
	v_pack_b32_f16 v0, v0, v2
	v_pack_b32_f16 v1, v1, v3
	v_perm_b32 v3, v12, v9, 0x5040100
	v_pack_b32_f16 v2, v4, v11
	v_add_nc_u32_e32 v4, 0x200, v5
	v_perm_b32 v6, v15, v13, 0x5040100
	v_perm_b32 v7, v16, v14, 0x5040100
	v_add_nc_u32_e32 v10, 0x400, v5
	ds_store_2addr_b32 v5, v0, v1 offset1:90
	ds_store_2addr_b32 v4, v2, v3 offset0:52 offset1:142
	ds_store_2addr_b32 v10, v6, v7 offset0:104 offset1:194
.LBB0_29:
	s_wait_alu 0xfffe
	s_or_b32 exec_lo, exec_lo, s1
	v_add_nc_u32_e32 v0, 0x500, v45
	v_add_nc_u32_e32 v4, 0x1000, v45
	;; [unrolled: 1-line block ×3, first 2 shown]
	global_wb scope:SCOPE_SE
	s_wait_dscnt 0x0
	s_barrier_signal -1
	s_barrier_wait -1
	global_inv scope:SCOPE_SE
	ds_load_2addr_b32 v[2:3], v45 offset1:162
	ds_load_2addr_b32 v[0:1], v0 offset0:4 offset1:220
	ds_load_2addr_b32 v[6:7], v4 offset0:56 offset1:218
	;; [unrolled: 1-line block ×3, first 2 shown]
	ds_load_b32 v11, v45 offset:5616
	s_and_saveexec_b32 s0, vcc_lo
	s_cbranch_execz .LBB0_31
; %bb.30:
	ds_load_b32 v9, v45 offset:1944
	ds_load_b32 v13, v45 offset:4104
	;; [unrolled: 1-line block ×3, first 2 shown]
	s_wait_dscnt 0x2
	v_lshrrev_b32_e32 v12, 16, v9
	s_wait_dscnt 0x1
	v_lshrrev_b32_e32 v15, 16, v13
	;; [unrolled: 2-line block ×3, first 2 shown]
.LBB0_31:
	s_wait_alu 0xfffe
	s_or_b32 exec_lo, exec_lo, s0
	s_wait_dscnt 0x3
	v_lshrrev_b32_e32 v18, 16, v1
	s_wait_dscnt 0x2
	v_lshrrev_b32_e32 v19, 16, v6
	s_wait_dscnt 0x1
	v_lshrrev_b32_e32 v21, 16, v4
	v_lshrrev_b32_e32 v22, 16, v7
	v_mul_f16_e32 v34, v102, v1
	v_mul_f16_e32 v24, v102, v18
	;; [unrolled: 1-line block ×3, first 2 shown]
	v_lshrrev_b32_e32 v33, 16, v5
	s_wait_dscnt 0x0
	v_lshrrev_b32_e32 v35, 16, v11
	v_fma_f16 v18, v31, v18, -v34
	v_fmac_f16_e32 v24, v31, v1
	v_mul_f16_e32 v1, v99, v6
	v_mul_f16_e32 v31, v100, v21
	v_fmac_f16_e32 v36, v32, v6
	v_mul_f16_e32 v6, v100, v4
	v_lshrrev_b32_e32 v17, 16, v2
	v_fma_f16 v1, v32, v19, -v1
	v_mul_f16_e32 v19, v97, v22
	v_fmac_f16_e32 v31, v29, v4
	v_mul_f16_e32 v4, v97, v7
	v_fma_f16 v6, v29, v21, -v6
	v_mul_f16_e32 v21, v96, v33
	v_fmac_f16_e32 v19, v30, v7
	v_mul_f16_e32 v7, v96, v5
	;; [unrolled: 4-line block ×3, first 2 shown]
	v_fma_f16 v7, v27, v33, -v7
	v_add_f16_e32 v27, v24, v36
	v_fmac_f16_e32 v22, v28, v11
	v_add_f16_e32 v11, v2, v24
	v_fma_f16 v5, v28, v35, -v5
	v_add_f16_e32 v28, v18, v1
	v_fma_f16 v2, -0.5, v27, v2
	v_sub_f16_e32 v27, v18, v1
	v_add_f16_e32 v18, v17, v18
	v_sub_f16_e32 v24, v24, v36
	v_fmac_f16_e32 v17, -0.5, v28
	v_add_f16_e32 v29, v3, v31
	v_lshrrev_b32_e32 v20, 16, v3
	v_add_f16_e32 v1, v18, v1
	v_add_f16_e32 v18, v31, v19
	v_lshrrev_b32_e32 v23, 16, v0
	v_fmamk_f16 v28, v27, 0xbaee, v2
	v_fmac_f16_e32 v2, 0x3aee, v27
	v_fmamk_f16 v27, v24, 0x3aee, v17
	v_fmac_f16_e32 v17, 0xbaee, v24
	v_add_f16_e32 v24, v6, v4
	v_fmac_f16_e32 v3, -0.5, v18
	v_sub_f16_e32 v18, v6, v4
	v_add_f16_e32 v30, v21, v22
	v_add_f16_e32 v29, v29, v19
	v_sub_f16_e32 v19, v31, v19
	v_add_f16_e32 v31, v7, v5
	v_add_f16_e32 v6, v20, v6
	v_fmac_f16_e32 v20, -0.5, v24
	v_fmamk_f16 v24, v18, 0xbaee, v3
	v_fmac_f16_e32 v3, 0x3aee, v18
	v_add_f16_e32 v18, v0, v21
	v_fmac_f16_e32 v0, -0.5, v30
	v_sub_f16_e32 v30, v7, v5
	v_add_f16_e32 v7, v23, v7
	v_fmac_f16_e32 v23, -0.5, v31
	v_sub_f16_e32 v21, v21, v22
	v_add_f16_e32 v11, v11, v36
	v_add_f16_e32 v4, v6, v4
	;; [unrolled: 1-line block ×3, first 2 shown]
	v_pack_b32_f16 v7, v28, v27
	v_fmamk_f16 v6, v19, 0x3aee, v20
	v_fmac_f16_e32 v20, 0xbaee, v19
	v_pack_b32_f16 v2, v2, v17
	v_add_f16_e32 v18, v18, v22
	v_fmamk_f16 v19, v30, 0xbaee, v0
	v_fmamk_f16 v17, v21, 0x3aee, v23
	v_fmac_f16_e32 v0, 0x3aee, v30
	v_fmac_f16_e32 v23, 0xbaee, v21
	v_pack_b32_f16 v1, v11, v1
	ds_store_b32 v45, v7 offset:2160
	ds_store_b32 v45, v2 offset:4320
	v_pack_b32_f16 v2, v29, v4
	v_pack_b32_f16 v3, v3, v20
	;; [unrolled: 1-line block ×6, first 2 shown]
	ds_store_2addr_b32 v45, v1, v2 offset1:162
	ds_store_b32 v45, v3 offset:4968
	ds_store_b32 v45, v5 offset:1296
	ds_store_2addr_b32 v10, v4, v6 offset0:62 offset1:224
	ds_store_b32 v45, v0 offset:5616
	s_and_saveexec_b32 s0, vcc_lo
	s_cbranch_execz .LBB0_33
; %bb.32:
	v_mul_f16_e32 v0, v42, v13
	v_mul_f16_e32 v1, v41, v14
	;; [unrolled: 1-line block ×4, first 2 shown]
	s_delay_alu instid0(VALU_DEP_4) | instskip(NEXT) | instid1(VALU_DEP_4)
	v_fma_f16 v0, v25, v15, -v0
	v_fma_f16 v1, v26, v16, -v1
	s_delay_alu instid0(VALU_DEP_4) | instskip(NEXT) | instid1(VALU_DEP_4)
	v_fmac_f16_e32 v2, v25, v13
	v_fmac_f16_e32 v3, v26, v14
	s_delay_alu instid0(VALU_DEP_4) | instskip(NEXT) | instid1(VALU_DEP_4)
	v_add_f16_e32 v7, v12, v0
	v_add_f16_e32 v4, v0, v1
	v_sub_f16_e32 v0, v0, v1
	s_delay_alu instid0(VALU_DEP_4)
	v_add_f16_e32 v6, v2, v3
	v_sub_f16_e32 v5, v2, v3
	v_add_f16_e32 v2, v9, v2
	v_fma_f16 v4, -0.5, v4, v12
	v_add_f16_e32 v1, v7, v1
	v_fma_f16 v6, -0.5, v6, v9
	s_delay_alu instid0(VALU_DEP_4) | instskip(NEXT) | instid1(VALU_DEP_4)
	v_add_f16_e32 v2, v2, v3
	v_fmamk_f16 v3, v5, 0xbaee, v4
	v_fmac_f16_e32 v4, 0x3aee, v5
	s_delay_alu instid0(VALU_DEP_4) | instskip(SKIP_2) | instid1(VALU_DEP_3)
	v_fmamk_f16 v5, v0, 0x3aee, v6
	v_fmac_f16_e32 v6, 0xbaee, v0
	v_pack_b32_f16 v0, v2, v1
	v_pack_b32_f16 v2, v5, v3
	s_delay_alu instid0(VALU_DEP_3)
	v_pack_b32_f16 v1, v6, v4
	ds_store_b32 v45, v0 offset:1944
	ds_store_b32 v45, v1 offset:4104
	;; [unrolled: 1-line block ×3, first 2 shown]
.LBB0_33:
	s_wait_alu 0xfffe
	s_or_b32 exec_lo, exec_lo, s0
	global_wb scope:SCOPE_SE
	s_wait_dscnt 0x0
	s_barrier_signal -1
	s_barrier_wait -1
	global_inv scope:SCOPE_SE
	ds_load_2addr_b32 v[0:1], v45 offset1:162
	v_add_nc_u32_e32 v4, 0x400, v45
	s_mov_b32 s8, 0x30abee4d
	s_mov_b32 s9, 0x3f443a27
	v_mad_co_u64_u32 v[15:16], null, s6, v8, 0
	v_mad_co_u64_u32 v[17:18], null, s4, v57, 0
	s_wait_dscnt 0x0
	v_lshrrev_b32_e32 v2, 16, v0
	v_mul_f16_e32 v3, v64, v0
	v_lshrrev_b32_e32 v5, 16, v1
	v_mul_f16_e32 v6, v63, v1
	s_delay_alu instid0(VALU_DEP_4) | instskip(NEXT) | instid1(VALU_DEP_4)
	v_mul_f16_e32 v9, v64, v2
	v_fma_f16 v7, v60, v2, -v3
	ds_load_2addr_b32 v[2:3], v4 offset0:68 offset1:230
	v_fma_f16 v4, v61, v5, -v6
	v_mul_f16_e32 v10, v63, v5
	v_fmac_f16_e32 v9, v60, v0
	v_cvt_f32_f16_e32 v6, v7
	s_delay_alu instid0(VALU_DEP_4) | instskip(NEXT) | instid1(VALU_DEP_4)
	v_cvt_f32_f16_e32 v0, v4
	v_fmac_f16_e32 v10, v61, v1
	s_delay_alu instid0(VALU_DEP_4) | instskip(NEXT) | instid1(VALU_DEP_4)
	v_cvt_f32_f16_e32 v9, v9
	v_cvt_f64_f32_e32 v[4:5], v6
	s_delay_alu instid0(VALU_DEP_4) | instskip(NEXT) | instid1(VALU_DEP_3)
	v_cvt_f64_f32_e32 v[6:7], v0
	v_cvt_f64_f32_e32 v[0:1], v9
	v_cvt_f32_f16_e32 v9, v10
	s_delay_alu instid0(VALU_DEP_1) | instskip(SKIP_4) | instid1(VALU_DEP_3)
	v_cvt_f64_f32_e32 v[9:10], v9
	s_wait_dscnt 0x0
	v_lshrrev_b32_e32 v11, 16, v2
	v_mul_f16_e32 v13, v62, v2
	v_lshrrev_b32_e32 v21, 16, v3
	v_mul_f16_e32 v12, v62, v11
	s_delay_alu instid0(VALU_DEP_1) | instskip(NEXT) | instid1(VALU_DEP_4)
	v_fmac_f16_e32 v12, v59, v2
	v_fma_f16 v2, v59, v11, -v13
	s_delay_alu instid0(VALU_DEP_2) | instskip(NEXT) | instid1(VALU_DEP_2)
	v_cvt_f32_f16_e32 v11, v12
	v_cvt_f32_f16_e32 v2, v2
	s_delay_alu instid0(VALU_DEP_2) | instskip(NEXT) | instid1(VALU_DEP_2)
	v_cvt_f64_f32_e32 v[11:12], v11
	v_cvt_f64_f32_e32 v[13:14], v2
	v_mov_b32_e32 v2, v16
	s_wait_alu 0xfffe
	v_mul_f64_e32 v[4:5], s[8:9], v[4:5]
	v_mul_f64_e32 v[6:7], s[8:9], v[6:7]
	;; [unrolled: 1-line block ×6, first 2 shown]
	v_and_or_b32 v4, 0x1ff, v5, v4
	v_and_or_b32 v6, 0x1ff, v7, v6
	v_bfe_u32 v22, v7, 20, 11
	v_and_or_b32 v0, 0x1ff, v1, v0
	s_delay_alu instid0(VALU_DEP_4)
	v_cmp_ne_u32_e32 vcc_lo, 0, v4
	v_bfe_u32 v24, v1, 20, 11
	v_lshrrev_b32_e32 v23, 8, v1
	v_sub_nc_u32_e32 v28, 0x3f1, v22
	v_lshrrev_b32_e32 v1, 16, v1
	s_wait_alu 0xfffd
	v_cndmask_b32_e64 v4, 0, 1, vcc_lo
	v_cmp_ne_u32_e32 vcc_lo, 0, v6
	v_bfe_u32 v27, v10, 20, 11
	v_mov_b32_e32 v16, v18
	v_mad_co_u64_u32 v[18:19], null, s7, v8, v[2:3]
	s_wait_alu 0xfffd
	v_cndmask_b32_e64 v6, 0, 1, vcc_lo
	v_cmp_ne_u32_e32 vcc_lo, 0, v0
	v_mad_co_u64_u32 v[19:20], null, s5, v57, v[16:17]
	v_and_or_b32 v9, 0x1ff, v10, v9
	v_sub_nc_u32_e32 v29, 0x3f1, v24
	s_wait_alu 0xfffd
	v_cndmask_b32_e64 v0, 0, 1, vcc_lo
	v_lshrrev_b32_e32 v8, 8, v5
	v_lshrrev_b32_e32 v20, 8, v7
	v_cmp_ne_u32_e32 vcc_lo, 0, v9
	v_lshrrev_b32_e32 v26, 8, v10
	v_and_or_b32 v0, 0xffe, v23, v0
	v_med3_i32 v23, v29, 0, 13
	v_mov_b32_e32 v16, v18
	v_mov_b32_e32 v18, v19
	v_bfe_u32 v19, v5, 20, 11
	v_and_or_b32 v4, 0xffe, v8, v4
	s_wait_alu 0xfffd
	v_cndmask_b32_e64 v9, 0, 1, vcc_lo
	v_and_or_b32 v6, 0xffe, v20, v6
	v_and_or_b32 v11, 0x1ff, v12, v11
	v_sub_nc_u32_e32 v25, 0x3f1, v19
	v_add_nc_u32_e32 v19, 0xfffffc10, v19
	v_cmp_ne_u32_e32 vcc_lo, 0, v4
	v_and_or_b32 v9, 0xffe, v26, v9
	v_or_b32_e32 v29, 0x1000, v4
	v_med3_i32 v8, v25, 0, 13
	v_sub_nc_u32_e32 v25, 0x3f1, v27
	v_add_nc_u32_e32 v27, 0xfffffc10, v27
	v_lshl_or_b32 v31, v19, 12, v4
	s_wait_alu 0xfffd
	v_cndmask_b32_e64 v4, 0, 1, vcc_lo
	v_cmp_ne_u32_e32 vcc_lo, 0, v6
	v_or_b32_e32 v26, 0x1000, v6
	v_lshl_or_b32 v38, v27, 12, v9
	v_add_nc_u32_e32 v22, 0xfffffc10, v22
	v_add_nc_u32_e32 v24, 0xfffffc10, v24
	v_med3_i32 v20, v28, 0, 13
	v_lshrrev_b32_e32 v36, v8, v29
	v_lshrrev_b32_e32 v28, 8, v12
	v_lshl_or_b32 v32, v22, 12, v6
	s_wait_alu 0xfffd
	v_cndmask_b32_e64 v6, 0, 1, vcc_lo
	v_cmp_ne_u32_e32 vcc_lo, 0, v11
	v_or_b32_e32 v34, 0x1000, v0
	v_lshl_or_b32 v35, v24, 12, v0
	v_lshrrev_b32_e32 v39, v20, v26
	v_lshlrev_b32_e32 v8, v8, v36
	s_wait_alu 0xfffd
	v_cndmask_b32_e64 v11, 0, 1, vcc_lo
	v_cmp_ne_u32_e32 vcc_lo, 0, v0
	v_med3_i32 v25, v25, 0, 13
	v_or_b32_e32 v37, 0x1000, v9
	v_lshlrev_b32_e32 v20, v20, v39
	v_and_or_b32 v11, 0xffe, v28, v11
	s_wait_alu 0xfffd
	v_cndmask_b32_e64 v0, 0, 1, vcc_lo
	v_cmp_ne_u32_e32 vcc_lo, 0, v9
	v_lshrrev_b32_e32 v28, v23, v34
	v_lshrrev_b32_e32 v40, v25, v37
	v_bfe_u32 v30, v12, 20, 11
	v_lshl_or_b32 v0, v0, 9, 0x7c00
	s_wait_alu 0xfffd
	v_cndmask_b32_e64 v9, 0, 1, vcc_lo
	v_cmp_ne_u32_e32 vcc_lo, v8, v29
	v_lshlrev_b32_e32 v23, v23, v28
	v_lshlrev_b32_e32 v25, v25, v40
	v_lshl_or_b32 v4, v4, 9, 0x7c00
	v_lshl_or_b32 v9, v9, 9, 0x7c00
	s_wait_alu 0xfffd
	v_cndmask_b32_e64 v8, 0, 1, vcc_lo
	v_cmp_ne_u32_e32 vcc_lo, v20, v26
	v_lshrrev_b32_e32 v5, 16, v5
	v_mul_f16_e32 v2, v58, v21
	v_sub_nc_u32_e32 v33, 0x3f1, v30
	v_or_b32_e32 v8, v36, v8
	s_wait_alu 0xfffd
	v_cndmask_b32_e64 v20, 0, 1, vcc_lo
	v_cmp_ne_u32_e32 vcc_lo, v23, v34
	v_fmac_f16_e32 v2, v56, v3
	v_lshlrev_b64_e32 v[15:16], 2, v[15:16]
	v_lshrrev_b32_e32 v7, 16, v7
	v_or_b32_e32 v20, v39, v20
	s_wait_alu 0xfffd
	v_cndmask_b32_e64 v23, 0, 1, vcc_lo
	v_cmp_ne_u32_e32 vcc_lo, v25, v37
	v_cvt_f32_f16_e32 v2, v2
	v_mul_f16_e32 v3, v58, v3
	v_lshrrev_b32_e32 v12, 16, v12
	v_or_b32_e32 v23, v28, v23
	s_wait_alu 0xfffd
	v_cndmask_b32_e64 v25, 0, 1, vcc_lo
	v_cmp_gt_i32_e32 vcc_lo, 1, v19
	v_fma_f16 v3, v56, v21, -v3
	s_delay_alu instid0(VALU_DEP_3) | instskip(SKIP_3) | instid1(VALU_DEP_2)
	v_or_b32_e32 v25, v40, v25
	s_wait_alu 0xfffd
	v_cndmask_b32_e32 v8, v31, v8, vcc_lo
	v_cmp_gt_i32_e32 vcc_lo, 1, v22
	v_and_b32_e32 v26, 7, v8
	s_wait_alu 0xfffd
	v_cndmask_b32_e32 v20, v32, v20, vcc_lo
	v_cmp_gt_i32_e32 vcc_lo, 1, v24
	v_lshrrev_b32_e32 v8, 2, v8
	v_cmp_eq_u32_e64 s2, 3, v26
	s_wait_alu 0xfffd
	v_cndmask_b32_e32 v23, v35, v23, vcc_lo
	v_cmp_gt_i32_e32 vcc_lo, 1, v27
	s_delay_alu instid0(VALU_DEP_2)
	v_and_b32_e32 v28, 7, v23
	v_lshrrev_b32_e32 v23, 2, v23
	s_wait_alu 0xfffd
	v_cndmask_b32_e32 v25, v38, v25, vcc_lo
	v_cmp_lt_i32_e32 vcc_lo, 5, v26
	v_cmp_lt_i32_e64 s0, 5, v28
	v_cmp_eq_u32_e64 s1, 3, v28
	s_delay_alu instid0(VALU_DEP_4)
	v_and_b32_e32 v26, 7, v25
	s_or_b32 vcc_lo, s2, vcc_lo
	v_lshrrev_b32_e32 v25, 2, v25
	s_wait_alu 0xfffe
	v_add_co_ci_u32_e32 v8, vcc_lo, 0, v8, vcc_lo
	s_or_b32 s0, s1, s0
	v_cmp_gt_i32_e64 s1, 31, v19
	s_wait_alu 0xfffe
	v_add_co_ci_u32_e64 v23, s0, 0, v23, s0
	v_cmp_gt_i32_e64 s0, 31, v24
	v_cmp_lt_i32_e32 vcc_lo, 5, v26
	s_wait_alu 0xf1ff
	v_cndmask_b32_e64 v8, 0x7c00, v8, s1
	v_cmp_eq_u32_e64 s1, 0x40f, v24
	v_cndmask_b32_e64 v23, 0x7c00, v23, s0
	v_cmp_eq_u32_e64 s0, 3, v26
	s_wait_alu 0xf1ff
	s_delay_alu instid0(VALU_DEP_2) | instskip(NEXT) | instid1(VALU_DEP_2)
	v_cndmask_b32_e64 v0, v23, v0, s1
	s_or_b32 vcc_lo, s0, vcc_lo
	v_cmp_gt_i32_e64 s0, 31, v27
	s_wait_alu 0xfffe
	v_add_co_ci_u32_e32 v23, vcc_lo, 0, v25, vcc_lo
	v_cmp_eq_u32_e32 vcc_lo, 0x40f, v19
	v_and_or_b32 v0, 0x8000, v1, v0
	s_wait_alu 0xf1ff
	s_delay_alu instid0(VALU_DEP_3)
	v_cndmask_b32_e64 v1, 0x7c00, v23, s0
	v_and_b32_e32 v29, 7, v20
	s_wait_alu 0xfffd
	v_cndmask_b32_e32 v4, v8, v4, vcc_lo
	v_lshrrev_b32_e32 v20, 2, v20
	v_and_b32_e32 v0, 0xffff, v0
	v_cmp_lt_i32_e64 s3, 5, v29
	v_cmp_eq_u32_e32 vcc_lo, 3, v29
	v_and_or_b32 v4, 0x8000, v5, v4
	s_delay_alu instid0(VALU_DEP_3) | instskip(NEXT) | instid1(VALU_DEP_1)
	s_or_b32 vcc_lo, vcc_lo, s3
	v_lshl_or_b32 v19, v4, 16, v0
	s_wait_alu 0xfffe
	v_add_co_ci_u32_e32 v5, vcc_lo, 0, v20, vcc_lo
	v_cmp_eq_u32_e32 vcc_lo, 0x40f, v27
	s_mul_u64 s[2:3], s[4:5], 0x288
	s_wait_alu 0xfffd
	v_cndmask_b32_e32 v8, v1, v9, vcc_lo
	v_cmp_gt_i32_e32 vcc_lo, 31, v22
	v_cvt_f64_f32_e32 v[0:1], v2
	v_lshl_or_b32 v2, v6, 9, 0x7c00
	v_or_b32_e32 v6, 0x1000, v11
	v_lshrrev_b32_e32 v9, 16, v10
	s_wait_alu 0xfffd
	v_cndmask_b32_e32 v4, 0x7c00, v5, vcc_lo
	v_med3_i32 v5, v33, 0, 13
	v_cmp_eq_u32_e32 vcc_lo, 0x40f, v22
	v_and_or_b32 v8, 0x8000, v9, v8
	s_delay_alu instid0(VALU_DEP_3)
	v_lshrrev_b32_e32 v10, v5, v6
	s_wait_alu 0xfffd
	v_cndmask_b32_e32 v2, v4, v2, vcc_lo
	v_add_co_u32 v15, vcc_lo, s12, v15
	s_wait_alu 0xfffd
	v_add_co_ci_u32_e32 v16, vcc_lo, s13, v16, vcc_lo
	v_lshlrev_b32_e32 v20, v5, v10
	v_and_or_b32 v9, 0x8000, v7, v2
	v_and_or_b32 v2, 0x1ff, v14, v13
	v_lshrrev_b32_e32 v7, 8, v14
	v_add_nc_u32_e32 v13, 0xfffffc10, v30
	v_cmp_ne_u32_e32 vcc_lo, v20, v6
	v_lshlrev_b64_e32 v[4:5], 2, v[17:18]
	v_bfe_u32 v17, v14, 20, 11
	v_and_b32_e32 v8, 0xffff, v8
	v_lshrrev_b32_e32 v14, 16, v14
	s_wait_alu 0xfffd
	v_cndmask_b32_e64 v6, 0, 1, vcc_lo
	v_cmp_ne_u32_e32 vcc_lo, 0, v2
	s_delay_alu instid0(VALU_DEP_2) | instskip(SKIP_4) | instid1(VALU_DEP_3)
	v_or_b32_e32 v6, v10, v6
	s_wait_alu 0xfffd
	v_cndmask_b32_e64 v2, 0, 1, vcc_lo
	v_lshl_or_b32 v10, v13, 12, v11
	v_cmp_gt_i32_e32 vcc_lo, 1, v13
	v_and_or_b32 v18, 0xffe, v7, v2
	v_cvt_f32_f16_e32 v2, v3
	v_sub_nc_u32_e32 v7, 0x3f1, v17
	s_wait_alu 0xfffd
	v_cndmask_b32_e32 v10, v10, v6, vcc_lo
	v_mul_f64_e32 v[0:1], s[8:9], v[0:1]
	v_or_b32_e32 v20, 0x1000, v18
	v_cvt_f64_f32_e32 v[2:3], v2
	v_med3_i32 v21, v7, 0, 13
	v_add_nc_u32_e32 v6, 0xa00, v45
	v_and_b32_e32 v22, 7, v10
	v_add_co_u32 v4, vcc_lo, v15, v4
	s_delay_alu instid0(VALU_DEP_4)
	v_lshrrev_b32_e32 v23, v21, v20
	ds_load_2addr_b32 v[6:7], v6 offset0:8 offset1:170
	s_wait_alu 0xfffd
	v_add_co_ci_u32_e32 v5, vcc_lo, v16, v5, vcc_lo
	v_cmp_lt_i32_e32 vcc_lo, 5, v22
	v_cmp_eq_u32_e64 s0, 3, v22
	v_lshl_or_b32 v16, v9, 16, v8
	v_lshrrev_b32_e32 v8, 2, v10
	v_lshlrev_b32_e32 v15, v21, v23
	v_add_nc_u32_e32 v10, 0xfffffc10, v17
	s_or_b32 vcc_lo, s0, vcc_lo
	s_wait_alu 0xfffe
	v_add_co_ci_u32_e32 v8, vcc_lo, 0, v8, vcc_lo
	v_cmp_ne_u32_e64 s1, v15, v20
	v_cmp_ne_u32_e32 vcc_lo, 0, v11
	v_lshl_or_b32 v15, v10, 12, v18
	s_wait_alu 0xf1ff
	s_delay_alu instid0(VALU_DEP_3)
	v_cndmask_b32_e64 v9, 0, 1, s1
	s_wait_alu 0xfffd
	v_cndmask_b32_e64 v11, 0, 1, vcc_lo
	v_cmp_gt_i32_e32 vcc_lo, 31, v13
	s_wait_dscnt 0x0
	v_lshrrev_b32_e32 v17, 16, v6
	v_or_b32_e32 v9, v23, v9
	v_lshl_or_b32 v11, v11, 9, 0x7c00
	s_wait_alu 0xfffd
	v_cndmask_b32_e32 v8, 0x7c00, v8, vcc_lo
	v_cmp_gt_i32_e32 vcc_lo, 1, v10
	v_and_or_b32 v0, 0x1ff, v1, v0
	v_bfe_u32 v20, v1, 20, 11
	s_wait_alu 0xfffd
	v_cndmask_b32_e32 v9, v15, v9, vcc_lo
	v_mul_f16_e32 v15, v55, v17
	v_cmp_eq_u32_e32 vcc_lo, 0x40f, v13
	v_mul_f64_e32 v[2:3], s[8:9], v[2:3]
	v_cmp_ne_u32_e64 s1, 0, v0
	s_delay_alu instid0(VALU_DEP_4)
	v_fmac_f16_e32 v15, v54, v6
	s_wait_alu 0xfffd
	v_dual_cndmask_b32 v13, v8, v11 :: v_dual_and_b32 v8, 7, v9
	v_lshrrev_b32_e32 v11, 2, v9
	s_wait_alu 0xf1ff
	v_cndmask_b32_e64 v0, 0, 1, s1
	v_mul_f16_e32 v6, v55, v6
	v_cmp_lt_i32_e32 vcc_lo, 5, v8
	v_cmp_eq_u32_e64 s0, 3, v8
	v_cvt_f32_f16_e32 v8, v15
	v_lshrrev_b32_e32 v15, 8, v1
	v_fma_f16 v6, v54, v17, -v6
	v_and_or_b32 v17, 0x8000, v12, v13
	s_or_b32 vcc_lo, s0, vcc_lo
	v_cvt_f64_f32_e32 v[8:9], v8
	v_and_or_b32 v0, 0xffe, v15, v0
	v_sub_nc_u32_e32 v15, 0x3f1, v20
	s_wait_alu 0xfffe
	v_add_co_ci_u32_e32 v11, vcc_lo, 0, v11, vcc_lo
	v_cmp_ne_u32_e32 vcc_lo, 0, v18
	v_or_b32_e32 v21, 0x1000, v0
	v_med3_i32 v15, v15, 0, 13
	v_cvt_f32_f16_e32 v6, v6
	v_and_b32_e32 v17, 0xffff, v17
	s_wait_alu 0xfffd
	v_cndmask_b32_e64 v18, 0, 1, vcc_lo
	v_cmp_gt_i32_e32 vcc_lo, 31, v10
	v_lshrrev_b32_e32 v22, v15, v21
	v_cvt_f64_f32_e32 v[12:13], v6
	s_delay_alu instid0(VALU_DEP_4)
	v_lshl_or_b32 v18, v18, 9, 0x7c00
	s_wait_alu 0xfffd
	v_cndmask_b32_e32 v11, 0x7c00, v11, vcc_lo
	v_cmp_eq_u32_e32 vcc_lo, 0x40f, v10
	v_lshlrev_b32_e32 v15, v15, v22
	v_and_or_b32 v2, 0x1ff, v3, v2
	s_wait_alu 0xfffd
	v_cndmask_b32_e32 v18, v11, v18, vcc_lo
	v_add_co_u32 v10, vcc_lo, v4, s2
	s_wait_alu 0xfffd
	v_add_co_ci_u32_e32 v11, vcc_lo, s3, v5, vcc_lo
	v_cmp_ne_u32_e32 vcc_lo, v15, v21
	v_add_nc_u32_e32 v15, 0xfffffc10, v20
	v_bfe_u32 v20, v3, 20, 11
	s_clause 0x1
	global_store_b32 v[4:5], v19, off
	global_store_b32 v[10:11], v16, off
	s_wait_alu 0xfffd
	v_cndmask_b32_e64 v6, 0, 1, vcc_lo
	v_cmp_ne_u32_e32 vcc_lo, 0, v2
	v_add_nc_u32_e32 v19, 0xfffffc10, v20
	v_and_or_b32 v14, 0x8000, v14, v18
	v_lshrrev_b32_e32 v18, 8, v3
	v_or_b32_e32 v6, v22, v6
	s_wait_alu 0xfffd
	v_cndmask_b32_e64 v2, 0, 1, vcc_lo
	v_mul_f64_e32 v[8:9], s[8:9], v[8:9]
	v_lshl_or_b32 v21, v15, 12, v0
	v_cmp_gt_i32_e32 vcc_lo, 1, v15
	v_lshl_or_b32 v14, v14, 16, v17
	v_and_or_b32 v2, 0xffe, v18, v2
	v_sub_nc_u32_e32 v18, 0x3f1, v20
	s_wait_alu 0xfffd
	v_cndmask_b32_e32 v6, v21, v6, vcc_lo
	v_add_co_u32 v4, vcc_lo, v10, s2
	v_or_b32_e32 v21, 0x1000, v2
	v_med3_i32 v18, v18, 0, 13
	s_delay_alu instid0(VALU_DEP_4)
	v_and_b32_e32 v16, 7, v6
	s_wait_alu 0xfffd
	v_add_co_ci_u32_e32 v5, vcc_lo, s3, v11, vcc_lo
	v_lshrrev_b32_e32 v6, 2, v6
	v_lshrrev_b32_e32 v17, v18, v21
	v_cmp_lt_i32_e32 vcc_lo, 5, v16
	v_cmp_eq_u32_e64 s0, 3, v16
	v_lshrrev_b32_e32 v16, 16, v7
	global_store_b32 v[4:5], v14, off
	v_lshlrev_b32_e32 v10, v18, v17
	s_or_b32 vcc_lo, s0, vcc_lo
	v_mul_f16_e32 v20, v53, v16
	s_wait_alu 0xfffe
	v_add_co_ci_u32_e32 v6, vcc_lo, 0, v6, vcc_lo
	v_cmp_ne_u32_e64 s1, v10, v21
	v_cmp_ne_u32_e32 vcc_lo, 0, v0
	v_mul_f64_e32 v[10:11], s[8:9], v[12:13]
	v_lshl_or_b32 v13, v19, 12, v2
	v_fmac_f16_e32 v20, v52, v7
	s_wait_alu 0xf1ff
	v_cndmask_b32_e64 v18, 0, 1, s1
	s_wait_alu 0xfffd
	v_cndmask_b32_e64 v0, 0, 1, vcc_lo
	v_cmp_gt_i32_e32 vcc_lo, 1, v19
	v_lshrrev_b32_e32 v21, 16, v1
	v_or_b32_e32 v12, v17, v18
	v_and_or_b32 v8, 0x1ff, v9, v8
	v_lshl_or_b32 v0, v0, 9, 0x7c00
	s_wait_alu 0xfffd
	s_delay_alu instid0(VALU_DEP_3) | instskip(SKIP_3) | instid1(VALU_DEP_4)
	v_cndmask_b32_e32 v17, v13, v12, vcc_lo
	v_cmp_gt_i32_e32 vcc_lo, 31, v15
	v_cvt_f32_f16_e32 v12, v20
	v_lshrrev_b32_e32 v20, 8, v9
	v_and_b32_e32 v18, 7, v17
	s_wait_alu 0xfffd
	v_cndmask_b32_e32 v6, 0x7c00, v6, vcc_lo
	v_cmp_ne_u32_e32 vcc_lo, 0, v8
	v_cvt_f64_f32_e32 v[12:13], v12
	v_cmp_eq_u32_e64 s0, 3, v18
	s_wait_alu 0xfffd
	v_cndmask_b32_e64 v8, 0, 1, vcc_lo
	v_cmp_eq_u32_e32 vcc_lo, 0x40f, v15
	s_delay_alu instid0(VALU_DEP_2)
	v_and_or_b32 v8, 0xffe, v20, v8
	s_wait_alu 0xfffd
	v_cndmask_b32_e32 v15, v6, v0, vcc_lo
	v_bfe_u32 v6, v9, 20, 11
	v_cmp_lt_i32_e32 vcc_lo, 5, v18
	v_mul_f16_e32 v0, v53, v7
	v_lshrrev_b32_e32 v7, 2, v17
	v_or_b32_e32 v17, 0x1000, v8
	v_sub_nc_u32_e32 v1, 0x3f1, v6
	s_or_b32 vcc_lo, s0, vcc_lo
	v_fma_f16 v0, v52, v16, -v0
	s_wait_alu 0xfffe
	v_add_co_ci_u32_e32 v7, vcc_lo, 0, v7, vcc_lo
	v_med3_i32 v16, v1, 0, 13
	v_cmp_ne_u32_e32 vcc_lo, 0, v2
	v_and_or_b32 v10, 0x1ff, v11, v10
	v_cvt_f32_f16_e32 v0, v0
	v_bfe_u32 v23, v11, 20, 11
	v_lshrrev_b32_e32 v18, v16, v17
	s_wait_alu 0xfffd
	v_cndmask_b32_e64 v2, 0, 1, vcc_lo
	v_cmp_gt_i32_e32 vcc_lo, 31, v19
	v_cvt_f64_f32_e32 v[0:1], v0
	v_add_nc_u32_e32 v22, 0xfffffc10, v6
	v_and_or_b32 v15, 0x8000, v21, v15
	v_lshl_or_b32 v2, v2, 9, 0x7c00
	s_wait_alu 0xfffd
	v_dual_cndmask_b32 v20, 0x7c00, v7 :: v_dual_lshlrev_b32 v7, v16, v18
	v_cmp_ne_u32_e32 vcc_lo, 0, v10
	v_lshrrev_b32_e32 v16, 8, v11
	v_lshrrev_b32_e32 v9, 16, v9
	;; [unrolled: 1-line block ×3, first 2 shown]
	v_and_b32_e32 v15, 0xffff, v15
	s_wait_alu 0xfffd
	v_cndmask_b32_e64 v10, 0, 1, vcc_lo
	v_cmp_ne_u32_e32 vcc_lo, v7, v17
	v_mul_f64_e32 v[6:7], s[8:9], v[12:13]
	s_delay_alu instid0(VALU_DEP_3) | instskip(SKIP_4) | instid1(VALU_DEP_3)
	v_and_or_b32 v10, 0xffe, v16, v10
	s_wait_alu 0xfffd
	v_cndmask_b32_e64 v17, 0, 1, vcc_lo
	v_cmp_eq_u32_e32 vcc_lo, 0x40f, v19
	v_lshl_or_b32 v16, v22, 12, v8
	v_or_b32_e32 v13, v18, v17
	s_wait_alu 0xfffd
	v_cndmask_b32_e32 v12, v20, v2, vcc_lo
	v_sub_nc_u32_e32 v2, 0x3f1, v23
	v_cmp_gt_i32_e32 vcc_lo, 1, v22
	v_or_b32_e32 v17, 0x1000, v10
	v_add_nc_u32_e32 v18, 0xe00, v45
	s_delay_alu instid0(VALU_DEP_4)
	v_med3_i32 v19, v2, 0, 13
	s_wait_alu 0xfffd
	v_cndmask_b32_e32 v13, v16, v13, vcc_lo
	v_lshrrev_b32_e32 v16, 16, v3
	ds_load_2addr_b32 v[2:3], v18 offset0:76 offset1:238
	v_lshrrev_b32_e32 v18, v19, v17
	v_and_b32_e32 v20, 7, v13
	v_and_or_b32 v14, 0x8000, v16, v12
	v_lshrrev_b32_e32 v13, 2, v13
	v_add_nc_u32_e32 v16, 0xfffffc10, v23
	v_lshlrev_b32_e32 v12, v19, v18
	v_cmp_lt_i32_e32 vcc_lo, 5, v20
	v_cmp_eq_u32_e64 s0, 3, v20
	v_mul_f64_e32 v[0:1], s[8:9], v[0:1]
	v_lshl_or_b32 v14, v14, 16, v15
	v_cmp_ne_u32_e64 s1, v12, v17
	v_lshl_or_b32 v17, v16, 12, v10
	s_or_b32 vcc_lo, s0, vcc_lo
	s_wait_alu 0xfffe
	v_add_co_ci_u32_e32 v13, vcc_lo, 0, v13, vcc_lo
	v_cndmask_b32_e64 v12, 0, 1, s1
	v_cmp_ne_u32_e32 vcc_lo, 0, v8
	v_and_or_b32 v6, 0x1ff, v7, v6
	v_lshrrev_b32_e32 v20, 8, v7
	v_bfe_u32 v21, v7, 20, 11
	v_or_b32_e32 v12, v18, v12
	s_wait_dscnt 0x0
	v_lshrrev_b32_e32 v18, 16, v2
	s_wait_alu 0xfffd
	v_cndmask_b32_e64 v8, 0, 1, vcc_lo
	v_cmp_gt_i32_e32 vcc_lo, 1, v16
	s_delay_alu instid0(VALU_DEP_2) | instskip(SKIP_4) | instid1(VALU_DEP_3)
	v_lshl_or_b32 v8, v8, 9, 0x7c00
	s_wait_alu 0xfffd
	v_cndmask_b32_e32 v17, v17, v12, vcc_lo
	v_mul_f16_e32 v12, v51, v18
	v_cmp_gt_i32_e32 vcc_lo, 31, v22
	v_and_b32_e32 v19, 7, v17
	s_delay_alu instid0(VALU_DEP_3)
	v_fmac_f16_e32 v12, v50, v2
	s_wait_alu 0xfffd
	v_cndmask_b32_e32 v13, 0x7c00, v13, vcc_lo
	v_cmp_ne_u32_e32 vcc_lo, 0, v6
	v_lshrrev_b32_e32 v17, 2, v17
	v_cmp_eq_u32_e64 s0, 3, v19
	v_cvt_f32_f16_e32 v12, v12
	v_mul_f16_e32 v2, v51, v2
	s_wait_alu 0xfffd
	v_cndmask_b32_e64 v6, 0, 1, vcc_lo
	v_cmp_eq_u32_e32 vcc_lo, 0x40f, v22
	v_and_or_b32 v0, 0x1ff, v1, v0
	s_delay_alu instid0(VALU_DEP_3)
	v_and_or_b32 v6, 0xffe, v20, v6
	s_wait_alu 0xfffd
	v_cndmask_b32_e32 v8, v13, v8, vcc_lo
	v_cvt_f64_f32_e32 v[12:13], v12
	v_cmp_lt_i32_e32 vcc_lo, 5, v19
	v_sub_nc_u32_e32 v20, 0x3f1, v21
	v_or_b32_e32 v19, 0x1000, v6
	v_and_or_b32 v23, 0x8000, v9, v8
	v_lshrrev_b32_e32 v9, 8, v1
	s_or_b32 vcc_lo, s0, vcc_lo
	v_med3_i32 v20, v20, 0, 13
	s_wait_alu 0xfffe
	v_add_co_ci_u32_e32 v17, vcc_lo, 0, v17, vcc_lo
	v_cmp_gt_i32_e32 vcc_lo, 31, v16
	v_fma_f16 v2, v50, v18, -v2
	v_lshrrev_b32_e32 v22, v20, v19
	v_add_nc_u32_e32 v18, 0xfffffc10, v21
	s_wait_alu 0xfffd
	v_cndmask_b32_e32 v17, 0x7c00, v17, vcc_lo
	v_cmp_ne_u32_e32 vcc_lo, 0, v0
	v_lshlrev_b32_e32 v8, v20, v22
	v_bfe_u32 v20, v1, 20, 11
	v_cvt_f32_f16_e32 v2, v2
	s_wait_alu 0xfffd
	v_cndmask_b32_e64 v0, 0, 1, vcc_lo
	v_cmp_ne_u32_e32 vcc_lo, 0, v10
	s_delay_alu instid0(VALU_DEP_2)
	v_and_or_b32 v0, 0xffe, v9, v0
	s_wait_alu 0xfffd
	v_cndmask_b32_e64 v10, 0, 1, vcc_lo
	v_cmp_ne_u32_e32 vcc_lo, v8, v19
	v_sub_nc_u32_e32 v9, 0x3f1, v20
	v_or_b32_e32 v19, 0x1000, v0
	s_delay_alu instid0(VALU_DEP_4)
	v_lshl_or_b32 v10, v10, 9, 0x7c00
	s_wait_alu 0xfffd
	v_cndmask_b32_e64 v8, 0, 1, vcc_lo
	v_med3_i32 v21, v9, 0, 13
	v_cmp_eq_u32_e32 vcc_lo, 0x40f, v16
	v_mul_f64_e32 v[12:13], s[8:9], v[12:13]
	s_delay_alu instid0(VALU_DEP_4)
	v_or_b32_e32 v22, v22, v8
	v_cvt_f64_f32_e32 v[8:9], v2
	v_lshrrev_b32_e32 v24, v21, v19
	v_lshl_or_b32 v2, v18, 12, v6
	s_wait_alu 0xfffd
	v_dual_cndmask_b32 v10, v17, v10 :: v_dual_add_nc_u32 v17, 0xfffffc10, v20
	v_cmp_gt_i32_e32 vcc_lo, 1, v18
	v_lshlrev_b32_e32 v16, v21, v24
	s_delay_alu instid0(VALU_DEP_3) | instskip(SKIP_2) | instid1(VALU_DEP_3)
	v_and_or_b32 v10, 0x8000, v11, v10
	s_wait_alu 0xfffd
	v_dual_cndmask_b32 v2, v2, v22 :: v_dual_and_b32 v11, 0xffff, v23
	v_cmp_ne_u32_e32 vcc_lo, v16, v19
	v_cmp_gt_i32_e64 s1, 1, v17
	s_delay_alu instid0(VALU_DEP_3) | instskip(NEXT) | instid1(VALU_DEP_4)
	v_lshl_or_b32 v19, v10, 16, v11
	v_and_b32_e32 v15, 7, v2
	s_wait_alu 0xfffd
	v_cndmask_b32_e64 v16, 0, 1, vcc_lo
	v_add_co_u32 v4, vcc_lo, v4, s2
	s_wait_alu 0xfffd
	v_add_co_ci_u32_e32 v5, vcc_lo, s3, v5, vcc_lo
	s_delay_alu instid0(VALU_DEP_3)
	v_or_b32_e32 v10, v24, v16
	v_lshl_or_b32 v11, v17, 12, v0
	v_lshrrev_b32_e32 v16, 16, v3
	v_cmp_lt_i32_e32 vcc_lo, 5, v15
	v_cmp_eq_u32_e64 s0, 3, v15
	v_lshrrev_b32_e32 v2, 2, v2
	s_wait_alu 0xf1ff
	v_cndmask_b32_e64 v15, v11, v10, s1
	v_mul_f16_e32 v10, v49, v16
	s_or_b32 vcc_lo, s0, vcc_lo
	s_wait_alu 0xfffe
	v_add_co_ci_u32_e32 v2, vcc_lo, 0, v2, vcc_lo
	v_cmp_ne_u32_e32 vcc_lo, 0, v6
	v_fmac_f16_e32 v10, v48, v3
	v_and_or_b32 v12, 0x1ff, v13, v12
	v_and_b32_e32 v11, 7, v15
	v_mul_f64_e32 v[8:9], s[8:9], v[8:9]
	s_wait_alu 0xfffd
	v_cndmask_b32_e64 v6, 0, 1, vcc_lo
	v_cmp_gt_i32_e32 vcc_lo, 31, v18
	v_cmp_ne_u32_e64 s1, 0, v12
	v_cvt_f32_f16_e32 v10, v10
	v_cmp_eq_u32_e64 s0, 3, v11
	v_lshl_or_b32 v6, v6, 9, 0x7c00
	s_wait_alu 0xfffd
	v_cndmask_b32_e32 v2, 0x7c00, v2, vcc_lo
	s_wait_alu 0xf1ff
	v_cndmask_b32_e64 v12, 0, 1, s1
	v_cmp_eq_u32_e64 s1, 0x40f, v18
	v_cmp_lt_i32_e32 vcc_lo, 5, v11
	v_cvt_f64_f32_e32 v[10:11], v10
	v_lshrrev_b32_e32 v20, 8, v13
	v_bfe_u32 v21, v13, 20, 11
	s_wait_alu 0xf1ff
	v_cndmask_b32_e64 v2, v2, v6, s1
	v_lshrrev_b32_e32 v6, 2, v15
	s_or_b32 vcc_lo, s0, vcc_lo
	v_and_or_b32 v12, 0xffe, v20, v12
	v_sub_nc_u32_e32 v15, 0x3f1, v21
	v_lshrrev_b32_e32 v20, 16, v7
	s_wait_alu 0xfffe
	v_add_co_ci_u32_e32 v6, vcc_lo, 0, v6, vcc_lo
	v_cmp_ne_u32_e32 vcc_lo, 0, v0
	v_or_b32_e32 v18, 0x1000, v12
	v_med3_i32 v15, v15, 0, 13
	v_and_or_b32 v20, 0x8000, v20, v2
	v_lshrrev_b32_e32 v13, 16, v13
	s_wait_alu 0xfffd
	v_cndmask_b32_e64 v0, 0, 1, vcc_lo
	v_cmp_gt_i32_e32 vcc_lo, 31, v17
	v_lshrrev_b32_e32 v23, v15, v18
	s_delay_alu instid0(VALU_DEP_3)
	v_lshl_or_b32 v0, v0, 9, 0x7c00
	s_wait_alu 0xfffd
	v_cndmask_b32_e32 v22, 0x7c00, v6, vcc_lo
	v_add_co_u32 v6, vcc_lo, v4, s2
	s_wait_alu 0xfffd
	v_add_co_ci_u32_e32 v7, vcc_lo, s3, v5, vcc_lo
	v_lshlrev_b32_e32 v2, v15, v23
	v_cmp_eq_u32_e32 vcc_lo, 0x40f, v17
	s_wait_alu 0xfffd
	v_cndmask_b32_e32 v15, v22, v0, vcc_lo
	v_and_or_b32 v0, 0x1ff, v9, v8
	v_cmp_ne_u32_e32 vcc_lo, v2, v18
	v_mul_f16_e32 v2, v49, v3
	v_lshrrev_b32_e32 v8, 16, v1
	v_lshrrev_b32_e32 v18, 8, v9
	v_bfe_u32 v22, v9, 20, 11
	s_wait_alu 0xfffd
	v_cndmask_b32_e64 v17, 0, 1, vcc_lo
	v_cmp_ne_u32_e32 vcc_lo, 0, v0
	v_mul_f64_e32 v[0:1], s[8:9], v[10:11]
	v_fma_f16 v2, v48, v16, -v2
	v_add_nc_u32_e32 v10, 0x1400, v45
	v_add_nc_u32_e32 v16, 0xfffffc10, v21
	s_wait_alu 0xfffd
	v_cndmask_b32_e64 v3, 0, 1, vcc_lo
	v_sub_nc_u32_e32 v21, 0x3f1, v22
	v_cvt_f32_f16_e32 v11, v2
	v_or_b32_e32 v17, v23, v17
	v_lshl_or_b32 v23, v16, 12, v12
	v_and_or_b32 v18, 0xffe, v18, v3
	ds_load_2addr_b32 v[2:3], v10 offset0:16 offset1:178
	v_cvt_f64_f32_e32 v[10:11], v11
	v_med3_i32 v21, v21, 0, 13
	v_and_or_b32 v8, 0x8000, v8, v15
	v_or_b32_e32 v24, 0x1000, v18
	v_and_b32_e32 v15, 0xffff, v20
	v_cmp_gt_i32_e32 vcc_lo, 1, v16
	s_clause 0x1
	global_store_b32 v[4:5], v14, off
	global_store_b32 v[6:7], v19, off
	v_cmp_eq_u32_e64 s1, 0x40f, v16
	v_lshrrev_b32_e32 v20, v21, v24
	v_lshl_or_b32 v14, v8, 16, v15
	s_wait_alu 0xfffd
	v_cndmask_b32_e32 v17, v23, v17, vcc_lo
	v_add_co_u32 v4, vcc_lo, v6, s2
	v_lshlrev_b32_e32 v15, v21, v20
	s_wait_alu 0xfffd
	v_add_co_ci_u32_e32 v5, vcc_lo, s3, v7, vcc_lo
	v_and_b32_e32 v8, 7, v17
	v_lshrrev_b32_e32 v9, 16, v9
	v_cmp_ne_u32_e64 s0, v15, v24
	s_wait_dscnt 0x0
	v_lshrrev_b32_e32 v19, 16, v2
	v_add_nc_u32_e32 v15, 0xfffffc10, v22
	v_cmp_lt_i32_e32 vcc_lo, 5, v8
	s_wait_alu 0xf1ff
	v_cndmask_b32_e64 v6, 0, 1, s0
	v_mul_f16_e32 v7, v47, v19
	v_cmp_eq_u32_e64 s0, 3, v8
	v_lshrrev_b32_e32 v8, 2, v17
	v_lshl_or_b32 v17, v15, 12, v18
	v_or_b32_e32 v6, v20, v6
	v_fmac_f16_e32 v7, v46, v2
	s_or_b32 vcc_lo, s0, vcc_lo
	v_and_or_b32 v0, 0x1ff, v1, v0
	s_wait_alu 0xfffe
	v_add_co_ci_u32_e32 v8, vcc_lo, 0, v8, vcc_lo
	v_cmp_gt_i32_e32 vcc_lo, 1, v15
	v_cvt_f32_f16_e32 v7, v7
	v_lshrrev_b32_e32 v20, 8, v1
	v_bfe_u32 v21, v1, 20, 11
	v_mul_f64_e32 v[10:11], s[8:9], v[10:11]
	s_wait_alu 0xfffd
	v_cndmask_b32_e32 v17, v17, v6, vcc_lo
	v_cmp_ne_u32_e32 vcc_lo, 0, v0
	v_cvt_f64_f32_e32 v[6:7], v7
	v_mul_f16_e32 v2, v47, v2
	s_delay_alu instid0(VALU_DEP_4)
	v_and_b32_e32 v22, 7, v17
	s_wait_alu 0xfffd
	v_cndmask_b32_e64 v0, 0, 1, vcc_lo
	v_cmp_ne_u32_e32 vcc_lo, 0, v12
	v_lshrrev_b32_e32 v17, 2, v17
	v_fma_f16 v2, v46, v19, -v2
	v_cmp_eq_u32_e64 s0, 3, v22
	v_and_or_b32 v0, 0xffe, v20, v0
	s_wait_alu 0xfffd
	v_cndmask_b32_e64 v12, 0, 1, vcc_lo
	v_cmp_gt_i32_e32 vcc_lo, 31, v16
	v_sub_nc_u32_e32 v20, 0x3f1, v21
	v_cvt_f32_f16_e32 v2, v2
	v_or_b32_e32 v23, 0x1000, v0
	v_lshl_or_b32 v12, v12, 9, 0x7c00
	s_wait_alu 0xfffd
	v_cndmask_b32_e32 v8, 0x7c00, v8, vcc_lo
	v_cmp_lt_i32_e32 vcc_lo, 5, v22
	v_med3_i32 v20, v20, 0, 13
	s_delay_alu instid0(VALU_DEP_3) | instskip(SKIP_1) | instid1(VALU_DEP_2)
	v_cndmask_b32_e64 v8, v8, v12, s1
	s_or_b32 vcc_lo, s0, vcc_lo
	v_lshrrev_b32_e32 v12, v20, v23
	s_wait_alu 0xfffe
	v_add_co_ci_u32_e32 v16, vcc_lo, 0, v17, vcc_lo
	v_cmp_ne_u32_e32 vcc_lo, 0, v18
	v_and_or_b32 v13, 0x8000, v13, v8
	v_lshlrev_b32_e32 v18, v20, v12
	v_add_nc_u32_e32 v20, 0xfffffc10, v21
	s_wait_alu 0xfffd
	v_cndmask_b32_e64 v17, 0, 1, vcc_lo
	v_cmp_gt_i32_e32 vcc_lo, 31, v15
	v_and_b32_e32 v13, 0xffff, v13
	v_and_or_b32 v10, 0x1ff, v11, v10
	s_delay_alu instid0(VALU_DEP_4)
	v_lshl_or_b32 v17, v17, 9, 0x7c00
	s_wait_alu 0xfffd
	v_cndmask_b32_e32 v16, 0x7c00, v16, vcc_lo
	v_cmp_ne_u32_e32 vcc_lo, v18, v23
	v_mul_f64_e32 v[6:7], s[8:9], v[6:7]
	s_wait_alu 0xfffd
	v_cndmask_b32_e64 v18, 0, 1, vcc_lo
	v_cmp_eq_u32_e32 vcc_lo, 0x40f, v15
	v_lshl_or_b32 v15, v20, 12, v0
	s_delay_alu instid0(VALU_DEP_3) | instskip(SKIP_4) | instid1(VALU_DEP_3)
	v_or_b32_e32 v12, v12, v18
	s_wait_alu 0xfffd
	v_cndmask_b32_e32 v8, v16, v17, vcc_lo
	v_cmp_gt_i32_e32 vcc_lo, 1, v20
	v_bfe_u32 v16, v11, 20, 11
	v_and_or_b32 v17, 0x8000, v9, v8
	s_wait_alu 0xfffd
	v_cndmask_b32_e32 v12, v15, v12, vcc_lo
	v_cmp_ne_u32_e32 vcc_lo, 0, v10
	v_lshrrev_b32_e32 v15, 8, v11
	v_cvt_f64_f32_e32 v[8:9], v2
	v_sub_nc_u32_e32 v2, 0x3f1, v16
	v_and_b32_e32 v18, 7, v12
	s_wait_alu 0xfffd
	v_cndmask_b32_e64 v10, 0, 1, vcc_lo
	v_lshrrev_b32_e32 v12, 2, v12
	v_lshl_or_b32 v17, v17, 16, v13
	v_med3_i32 v2, v2, 0, 13
	v_cmp_lt_i32_e32 vcc_lo, 5, v18
	v_and_or_b32 v10, 0xffe, v15, v10
	v_lshrrev_b32_e32 v15, 16, v3
	v_cmp_eq_u32_e64 s0, 3, v18
	v_add_nc_u32_e32 v16, 0xfffffc10, v16
	v_lshrrev_b32_e32 v11, 16, v11
	v_or_b32_e32 v19, 0x1000, v10
	v_mul_f16_e32 v21, v44, v15
	s_or_b32 vcc_lo, s0, vcc_lo
	v_lshl_or_b32 v23, v16, 12, v10
	s_wait_alu 0xfffe
	v_add_co_ci_u32_e32 v12, vcc_lo, 0, v12, vcc_lo
	v_lshrrev_b32_e32 v18, v2, v19
	v_cmp_ne_u32_e32 vcc_lo, 0, v0
	v_fmac_f16_e32 v21, v43, v3
	v_and_or_b32 v6, 0x1ff, v7, v6
	v_mul_f16_e32 v3, v44, v3
	v_lshlrev_b32_e32 v2, v2, v18
	s_wait_alu 0xfffd
	v_cndmask_b32_e64 v0, 0, 1, vcc_lo
	v_cmp_gt_i32_e32 vcc_lo, 31, v20
	v_cvt_f32_f16_e32 v13, v21
	v_bfe_u32 v22, v7, 20, 11
	v_fma_f16 v15, v43, v15, -v3
	v_lshl_or_b32 v0, v0, 9, 0x7c00
	s_wait_alu 0xfffd
	v_cndmask_b32_e32 v21, 0x7c00, v12, vcc_lo
	v_cmp_ne_u32_e32 vcc_lo, v2, v19
	v_cvt_f64_f32_e32 v[12:13], v13
	v_lshrrev_b32_e32 v19, 8, v7
	v_lshrrev_b32_e32 v7, 16, v7
	s_wait_alu 0xfffd
	v_cndmask_b32_e64 v2, 0, 1, vcc_lo
	v_cmp_ne_u32_e32 vcc_lo, 0, v6
	s_delay_alu instid0(VALU_DEP_2)
	v_or_b32_e32 v18, v18, v2
	s_wait_alu 0xfffd
	v_cndmask_b32_e64 v6, 0, 1, vcc_lo
	v_cmp_gt_i32_e32 vcc_lo, 1, v16
	v_mul_f64_e32 v[2:3], s[8:9], v[8:9]
	v_sub_nc_u32_e32 v8, 0x3f1, v22
	v_cvt_f32_f16_e32 v9, v15
	v_and_or_b32 v6, 0xffe, v19, v6
	s_wait_alu 0xfffd
	v_cndmask_b32_e32 v15, v23, v18, vcc_lo
	v_cmp_eq_u32_e32 vcc_lo, 0x40f, v20
	v_med3_i32 v19, v8, 0, 13
	v_cvt_f64_f32_e32 v[8:9], v9
	v_or_b32_e32 v18, 0x1000, v6
	s_wait_alu 0xfffd
	v_dual_cndmask_b32 v20, v21, v0 :: v_dual_and_b32 v23, 7, v15
	v_add_co_u32 v0, vcc_lo, v4, s2
	s_delay_alu instid0(VALU_DEP_3)
	v_lshrrev_b32_e32 v24, v19, v18
	v_lshrrev_b32_e32 v21, 16, v1
	s_wait_alu 0xfffd
	v_add_co_ci_u32_e32 v1, vcc_lo, s3, v5, vcc_lo
	v_cmp_lt_i32_e32 vcc_lo, 5, v23
	v_cmp_eq_u32_e64 s0, 3, v23
	v_lshrrev_b32_e32 v15, 2, v15
	v_lshlrev_b32_e32 v19, v19, v24
	s_delay_alu instid0(VALU_DEP_3) | instskip(SKIP_1) | instid1(VALU_DEP_2)
	s_or_b32 vcc_lo, s0, vcc_lo
	s_wait_alu 0xfffe
	v_add_co_ci_u32_e32 v15, vcc_lo, 0, v15, vcc_lo
	s_delay_alu instid0(VALU_DEP_2)
	v_cmp_ne_u32_e64 s1, v19, v18
	v_add_nc_u32_e32 v19, 0xfffffc10, v22
	v_cmp_ne_u32_e32 vcc_lo, 0, v10
	v_mul_f64_e32 v[12:13], s[8:9], v[12:13]
	v_and_or_b32 v20, 0x8000, v21, v20
	s_wait_alu 0xf1ff
	v_cndmask_b32_e64 v18, 0, 1, s1
	v_lshl_or_b32 v21, v19, 12, v6
	s_wait_alu 0xfffd
	v_cndmask_b32_e64 v10, 0, 1, vcc_lo
	v_cmp_gt_i32_e32 vcc_lo, 31, v16
	v_or_b32_e32 v18, v24, v18
	v_and_or_b32 v2, 0x1ff, v3, v2
	s_delay_alu instid0(VALU_DEP_4)
	v_lshl_or_b32 v10, v10, 9, 0x7c00
	s_wait_alu 0xfffd
	v_cndmask_b32_e32 v15, 0x7c00, v15, vcc_lo
	v_cmp_gt_i32_e32 vcc_lo, 1, v19
	v_mul_f64_e32 v[8:9], s[8:9], v[8:9]
	s_wait_alu 0xfffd
	v_cndmask_b32_e32 v18, v21, v18, vcc_lo
	v_cmp_eq_u32_e32 vcc_lo, 0x40f, v16
	v_lshrrev_b32_e32 v16, 8, v3
	v_bfe_u32 v21, v3, 20, 11
	v_lshrrev_b32_e32 v3, 16, v3
	s_wait_alu 0xfffd
	v_cndmask_b32_e32 v10, v15, v10, vcc_lo
	v_cmp_ne_u32_e32 vcc_lo, 0, v2
	s_delay_alu instid0(VALU_DEP_2) | instskip(SKIP_4) | instid1(VALU_DEP_3)
	v_and_or_b32 v10, 0x8000, v11, v10
	v_and_b32_e32 v11, 0xffff, v20
	v_and_b32_e32 v15, 7, v18
	s_wait_alu 0xfffd
	v_cndmask_b32_e64 v2, 0, 1, vcc_lo
	v_lshl_or_b32 v10, v10, 16, v11
	s_delay_alu instid0(VALU_DEP_3)
	v_cmp_lt_i32_e32 vcc_lo, 5, v15
	v_cmp_eq_u32_e64 s0, 3, v15
	v_lshrrev_b32_e32 v11, 2, v18
	v_and_or_b32 v2, 0xffe, v16, v2
	v_sub_nc_u32_e32 v16, 0x3f1, v21
	v_and_or_b32 v12, 0x1ff, v13, v12
	s_or_b32 vcc_lo, s0, vcc_lo
	v_lshrrev_b32_e32 v20, 8, v13
	s_wait_alu 0xfffe
	v_add_co_ci_u32_e32 v11, vcc_lo, 0, v11, vcc_lo
	v_or_b32_e32 v15, 0x1000, v2
	v_med3_i32 v16, v16, 0, 13
	v_cmp_ne_u32_e32 vcc_lo, 0, v6
	v_bfe_u32 v22, v13, 20, 11
	s_delay_alu instid0(VALU_DEP_3)
	v_lshrrev_b32_e32 v18, v16, v15
	s_wait_alu 0xfffd
	v_cndmask_b32_e64 v6, 0, 1, vcc_lo
	v_cmp_gt_i32_e32 vcc_lo, 31, v19
	v_and_or_b32 v8, 0x1ff, v9, v8
	v_lshlrev_b32_e32 v16, v16, v18
	s_delay_alu instid0(VALU_DEP_4)
	v_lshl_or_b32 v6, v6, 9, 0x7c00
	s_wait_alu 0xfffd
	v_cndmask_b32_e32 v11, 0x7c00, v11, vcc_lo
	v_cmp_ne_u32_e32 vcc_lo, 0, v12
	s_wait_alu 0xfffd
	v_cndmask_b32_e64 v12, 0, 1, vcc_lo
	v_cmp_ne_u32_e32 vcc_lo, v16, v15
	v_add_nc_u32_e32 v16, 0xfffffc10, v21
	v_bfe_u32 v21, v9, 20, 11
	s_delay_alu instid0(VALU_DEP_4) | instskip(SKIP_4) | instid1(VALU_DEP_2)
	v_and_or_b32 v12, 0xffe, v20, v12
	s_wait_alu 0xfffd
	v_cndmask_b32_e64 v15, 0, 1, vcc_lo
	v_sub_nc_u32_e32 v20, 0x3f1, v22
	v_cmp_eq_u32_e32 vcc_lo, 0x40f, v19
	v_med3_i32 v19, v20, 0, 13
	s_wait_alu 0xfffd
	v_cndmask_b32_e32 v6, v11, v6, vcc_lo
	v_or_b32_e32 v11, v18, v15
	v_lshl_or_b32 v15, v16, 12, v2
	v_or_b32_e32 v18, 0x1000, v12
	v_cmp_gt_i32_e32 vcc_lo, 1, v16
	v_lshrrev_b32_e32 v20, 8, v9
	v_and_or_b32 v6, 0x8000, v7, v6
	s_wait_alu 0xfffd
	v_cndmask_b32_e32 v11, v15, v11, vcc_lo
	v_lshrrev_b32_e32 v15, v19, v18
	v_cmp_ne_u32_e32 vcc_lo, 0, v8
	v_and_b32_e32 v6, 0xffff, v6
	s_delay_alu instid0(VALU_DEP_4) | instskip(NEXT) | instid1(VALU_DEP_4)
	v_and_b32_e32 v23, 7, v11
	v_lshlrev_b32_e32 v19, v19, v15
	s_wait_alu 0xfffd
	v_cndmask_b32_e64 v8, 0, 1, vcc_lo
	v_lshrrev_b32_e32 v11, 2, v11
	v_cmp_lt_i32_e32 vcc_lo, 5, v23
	v_cmp_ne_u32_e64 s0, v19, v18
	s_delay_alu instid0(VALU_DEP_4)
	v_and_or_b32 v7, 0xffe, v20, v8
	v_sub_nc_u32_e32 v8, 0x3f1, v21
	v_add_nc_u32_e32 v20, 0xfffffc10, v22
	s_wait_alu 0xf1ff
	v_cndmask_b32_e64 v18, 0, 1, s0
	v_cmp_eq_u32_e64 s0, 3, v23
	v_or_b32_e32 v19, 0x1000, v7
	v_med3_i32 v8, v8, 0, 13
	v_lshl_or_b32 v22, v20, 12, v12
	v_or_b32_e32 v15, v15, v18
	s_or_b32 vcc_lo, s0, vcc_lo
	s_wait_alu 0xfffe
	v_add_co_ci_u32_e32 v11, vcc_lo, 0, v11, vcc_lo
	v_lshrrev_b32_e32 v18, v8, v19
	v_cmp_gt_i32_e32 vcc_lo, 1, v20
	s_wait_alu 0xfffd
	s_delay_alu instid0(VALU_DEP_2) | instskip(SKIP_3) | instid1(VALU_DEP_3)
	v_dual_cndmask_b32 v15, v22, v15 :: v_dual_lshlrev_b32 v8, v8, v18
	v_cmp_ne_u32_e32 vcc_lo, 0, v2
	s_wait_alu 0xfffd
	v_cndmask_b32_e64 v2, 0, 1, vcc_lo
	v_cmp_ne_u32_e32 vcc_lo, v8, v19
	v_add_nc_u32_e32 v19, 0xfffffc10, v21
	v_and_b32_e32 v21, 7, v15
	s_delay_alu instid0(VALU_DEP_4)
	v_lshl_or_b32 v2, v2, 9, 0x7c00
	s_wait_alu 0xfffd
	v_cndmask_b32_e64 v8, 0, 1, vcc_lo
	v_cmp_gt_i32_e32 vcc_lo, 31, v16
	v_cmp_gt_i32_e64 s1, 1, v19
	v_cmp_eq_u32_e64 s0, 3, v21
	s_delay_alu instid0(VALU_DEP_4)
	v_or_b32_e32 v8, v18, v8
	v_lshl_or_b32 v18, v19, 12, v7
	s_wait_alu 0xfffd
	v_cndmask_b32_e32 v11, 0x7c00, v11, vcc_lo
	v_cmp_lt_i32_e32 vcc_lo, 5, v21
	s_wait_alu 0xf1ff
	v_cndmask_b32_e64 v8, v18, v8, s1
	v_cmp_eq_u32_e64 s1, 0x40f, v16
	s_or_b32 vcc_lo, s0, vcc_lo
	s_delay_alu instid0(VALU_DEP_1)
	v_cndmask_b32_e64 v2, v11, v2, s1
	v_lshrrev_b32_e32 v11, 2, v15
	v_and_b32_e32 v15, 7, v8
	v_lshrrev_b32_e32 v8, 2, v8
	v_cmp_gt_i32_e64 s1, 31, v20
	s_wait_alu 0xfffe
	v_add_co_ci_u32_e32 v11, vcc_lo, 0, v11, vcc_lo
	v_cmp_ne_u32_e32 vcc_lo, 0, v12
	v_cmp_eq_u32_e64 s0, 3, v15
	s_wait_alu 0xf1ff
	s_delay_alu instid0(VALU_DEP_3) | instskip(SKIP_3) | instid1(VALU_DEP_2)
	v_cndmask_b32_e64 v11, 0x7c00, v11, s1
	s_wait_alu 0xfffd
	v_cndmask_b32_e64 v12, 0, 1, vcc_lo
	v_cmp_lt_i32_e32 vcc_lo, 5, v15
	v_lshl_or_b32 v12, v12, 9, 0x7c00
	s_or_b32 vcc_lo, s0, vcc_lo
	s_wait_alu 0xfffe
	v_add_co_ci_u32_e32 v8, vcc_lo, 0, v8, vcc_lo
	v_cmp_ne_u32_e32 vcc_lo, 0, v7
	s_wait_alu 0xfffd
	v_cndmask_b32_e64 v7, 0, 1, vcc_lo
	v_cmp_eq_u32_e32 vcc_lo, 0x40f, v20
	s_delay_alu instid0(VALU_DEP_2)
	v_lshl_or_b32 v7, v7, 9, 0x7c00
	s_wait_alu 0xfffd
	v_cndmask_b32_e32 v11, v11, v12, vcc_lo
	v_cmp_gt_i32_e32 vcc_lo, 31, v19
	v_lshrrev_b32_e32 v12, 16, v13
	v_and_or_b32 v13, 0x8000, v3, v2
	s_wait_alu 0xfffd
	v_cndmask_b32_e32 v8, 0x7c00, v8, vcc_lo
	v_cmp_eq_u32_e32 vcc_lo, 0x40f, v19
	v_and_or_b32 v11, 0x8000, v12, v11
	v_lshl_or_b32 v12, v13, 16, v6
	s_wait_alu 0xfffd
	v_cndmask_b32_e32 v7, v8, v7, vcc_lo
	v_lshrrev_b32_e32 v8, 16, v9
	v_add_co_u32 v2, vcc_lo, v0, s2
	s_wait_alu 0xfffd
	v_add_co_ci_u32_e32 v3, vcc_lo, s3, v1, vcc_lo
	s_delay_alu instid0(VALU_DEP_3) | instskip(SKIP_4) | instid1(VALU_DEP_3)
	v_and_or_b32 v8, 0x8000, v8, v7
	v_and_b32_e32 v9, 0xffff, v11
	v_add_co_u32 v6, vcc_lo, v2, s2
	s_wait_alu 0xfffd
	v_add_co_ci_u32_e32 v7, vcc_lo, s3, v3, vcc_lo
	v_lshl_or_b32 v11, v8, 16, v9
	s_delay_alu instid0(VALU_DEP_3) | instskip(SKIP_1) | instid1(VALU_DEP_3)
	v_add_co_u32 v8, vcc_lo, v6, s2
	s_wait_alu 0xfffd
	v_add_co_ci_u32_e32 v9, vcc_lo, s3, v7, vcc_lo
	global_store_b32 v[4:5], v14, off
	global_store_b32 v[0:1], v17, off
	global_store_b32 v[2:3], v10, off
	global_store_b32 v[6:7], v12, off
	global_store_b32 v[8:9], v11, off
.LBB0_34:
	s_nop 0
	s_sendmsg sendmsg(MSG_DEALLOC_VGPRS)
	s_endpgm
	.section	.rodata,"a",@progbits
	.p2align	6, 0x0
	.amdhsa_kernel bluestein_single_fwd_len1620_dim1_half_op_CI_CI
		.amdhsa_group_segment_fixed_size 6480
		.amdhsa_private_segment_fixed_size 0
		.amdhsa_kernarg_size 104
		.amdhsa_user_sgpr_count 2
		.amdhsa_user_sgpr_dispatch_ptr 0
		.amdhsa_user_sgpr_queue_ptr 0
		.amdhsa_user_sgpr_kernarg_segment_ptr 1
		.amdhsa_user_sgpr_dispatch_id 0
		.amdhsa_user_sgpr_private_segment_size 0
		.amdhsa_wavefront_size32 1
		.amdhsa_uses_dynamic_stack 0
		.amdhsa_enable_private_segment 0
		.amdhsa_system_sgpr_workgroup_id_x 1
		.amdhsa_system_sgpr_workgroup_id_y 0
		.amdhsa_system_sgpr_workgroup_id_z 0
		.amdhsa_system_sgpr_workgroup_info 0
		.amdhsa_system_vgpr_workitem_id 0
		.amdhsa_next_free_vgpr 151
		.amdhsa_next_free_sgpr 20
		.amdhsa_reserve_vcc 1
		.amdhsa_float_round_mode_32 0
		.amdhsa_float_round_mode_16_64 0
		.amdhsa_float_denorm_mode_32 3
		.amdhsa_float_denorm_mode_16_64 3
		.amdhsa_fp16_overflow 0
		.amdhsa_workgroup_processor_mode 1
		.amdhsa_memory_ordered 1
		.amdhsa_forward_progress 0
		.amdhsa_round_robin_scheduling 0
		.amdhsa_exception_fp_ieee_invalid_op 0
		.amdhsa_exception_fp_denorm_src 0
		.amdhsa_exception_fp_ieee_div_zero 0
		.amdhsa_exception_fp_ieee_overflow 0
		.amdhsa_exception_fp_ieee_underflow 0
		.amdhsa_exception_fp_ieee_inexact 0
		.amdhsa_exception_int_div_zero 0
	.end_amdhsa_kernel
	.text
.Lfunc_end0:
	.size	bluestein_single_fwd_len1620_dim1_half_op_CI_CI, .Lfunc_end0-bluestein_single_fwd_len1620_dim1_half_op_CI_CI
                                        ; -- End function
	.section	.AMDGPU.csdata,"",@progbits
; Kernel info:
; codeLenInByte = 20404
; NumSgprs: 22
; NumVgprs: 151
; ScratchSize: 0
; MemoryBound: 0
; FloatMode: 240
; IeeeMode: 1
; LDSByteSize: 6480 bytes/workgroup (compile time only)
; SGPRBlocks: 2
; VGPRBlocks: 18
; NumSGPRsForWavesPerEU: 22
; NumVGPRsForWavesPerEU: 151
; Occupancy: 9
; WaveLimiterHint : 1
; COMPUTE_PGM_RSRC2:SCRATCH_EN: 0
; COMPUTE_PGM_RSRC2:USER_SGPR: 2
; COMPUTE_PGM_RSRC2:TRAP_HANDLER: 0
; COMPUTE_PGM_RSRC2:TGID_X_EN: 1
; COMPUTE_PGM_RSRC2:TGID_Y_EN: 0
; COMPUTE_PGM_RSRC2:TGID_Z_EN: 0
; COMPUTE_PGM_RSRC2:TIDIG_COMP_CNT: 0
	.text
	.p2alignl 7, 3214868480
	.fill 96, 4, 3214868480
	.type	__hip_cuid_ca68f3a6315d3b19,@object ; @__hip_cuid_ca68f3a6315d3b19
	.section	.bss,"aw",@nobits
	.globl	__hip_cuid_ca68f3a6315d3b19
__hip_cuid_ca68f3a6315d3b19:
	.byte	0                               ; 0x0
	.size	__hip_cuid_ca68f3a6315d3b19, 1

	.ident	"AMD clang version 19.0.0git (https://github.com/RadeonOpenCompute/llvm-project roc-6.4.0 25133 c7fe45cf4b819c5991fe208aaa96edf142730f1d)"
	.section	".note.GNU-stack","",@progbits
	.addrsig
	.addrsig_sym __hip_cuid_ca68f3a6315d3b19
	.amdgpu_metadata
---
amdhsa.kernels:
  - .args:
      - .actual_access:  read_only
        .address_space:  global
        .offset:         0
        .size:           8
        .value_kind:     global_buffer
      - .actual_access:  read_only
        .address_space:  global
        .offset:         8
        .size:           8
        .value_kind:     global_buffer
      - .actual_access:  read_only
        .address_space:  global
        .offset:         16
        .size:           8
        .value_kind:     global_buffer
      - .actual_access:  read_only
        .address_space:  global
        .offset:         24
        .size:           8
        .value_kind:     global_buffer
      - .actual_access:  read_only
        .address_space:  global
        .offset:         32
        .size:           8
        .value_kind:     global_buffer
      - .offset:         40
        .size:           8
        .value_kind:     by_value
      - .address_space:  global
        .offset:         48
        .size:           8
        .value_kind:     global_buffer
      - .address_space:  global
        .offset:         56
        .size:           8
        .value_kind:     global_buffer
      - .address_space:  global
        .offset:         64
        .size:           8
        .value_kind:     global_buffer
      - .address_space:  global
        .offset:         72
        .size:           8
        .value_kind:     global_buffer
      - .offset:         80
        .size:           4
        .value_kind:     by_value
      - .address_space:  global
        .offset:         88
        .size:           8
        .value_kind:     global_buffer
      - .address_space:  global
        .offset:         96
        .size:           8
        .value_kind:     global_buffer
    .group_segment_fixed_size: 6480
    .kernarg_segment_align: 8
    .kernarg_segment_size: 104
    .language:       OpenCL C
    .language_version:
      - 2
      - 0
    .max_flat_workgroup_size: 162
    .name:           bluestein_single_fwd_len1620_dim1_half_op_CI_CI
    .private_segment_fixed_size: 0
    .sgpr_count:     22
    .sgpr_spill_count: 0
    .symbol:         bluestein_single_fwd_len1620_dim1_half_op_CI_CI.kd
    .uniform_work_group_size: 1
    .uses_dynamic_stack: false
    .vgpr_count:     151
    .vgpr_spill_count: 0
    .wavefront_size: 32
    .workgroup_processor_mode: 1
amdhsa.target:   amdgcn-amd-amdhsa--gfx1201
amdhsa.version:
  - 1
  - 2
...

	.end_amdgpu_metadata
